;; amdgpu-corpus repo=triton-lang/triton kind=triton arch=gfx1100 opt=O3 lang=triton
	.amdgcn_target "amdgcn-amd-amdhsa--gfx1100"
	.amdhsa_code_object_version 5
	.text
	.globl	attention_fwd_kernel            ; -- Begin function attention_fwd_kernel
	.p2align	8
	.type	attention_fwd_kernel,@function
attention_fwd_kernel:                   ; @attention_fwd_kernel
.Lfunc_begin0:
	.file	1 "/root/src/amdgpu-assembly/repos/triton-lang__triton-aot" "attention_fwd.py"
	.loc	1 8 0                           ; attention_fwd.py:8:0
	.cfi_sections .debug_frame
	.cfi_startproc
; %bb.0:
	s_clause 0x1
	s_load_b64 s[6:7], s[0:1], 0x24
	s_load_b32 s100, s[0:1], 0x44
	v_dual_mov_b32 v4, 0 :: v_dual_and_b32 v3, 0x7f, v0
	s_load_b64 s[4:5], s[0:1], 0x0
.Ltmp0:
	.loc	1 17 46 prologue_end            ; attention_fwd.py:17:46
	v_lshrrev_b32_e32 v136, 7, v0
	.loc	1 17 23 is_stmt 0               ; attention_fwd.py:17:23
	s_lshl_b32 s41, s15, 7
	v_mov_b32_e32 v39, 0
	s_mov_b64 s[42:43], s[0:1]
	.loc	1 21 16 is_stmt 1               ; attention_fwd.py:21:16
	s_mov_b32 s0, exec_lo
	.loc	1 17 33                         ; attention_fwd.py:17:33
	v_or_b32_e32 v36, s41, v136
	.loc	1 20 65                         ; attention_fwd.py:20:65
	s_waitcnt lgkmcnt(0)
	v_mul_lo_u32 v1, s7, v3
	s_delay_alu instid0(VALU_DEP_1) | instskip(NEXT) | instid1(VALU_DEP_1)
	.loc	1 20 47 is_stmt 0               ; attention_fwd.py:20:47
	v_ashrrev_i32_e32 v2, 31, v1
	v_lshlrev_b64 v[1:2], 1, v[1:2]
	.loc	1 21 47 is_stmt 1               ; attention_fwd.py:21:47
	v_cmpx_gt_i32_e64 s100, v36
	.loc	1 21 16 is_stmt 0               ; attention_fwd.py:21:16
	s_cbranch_execz .LBB0_2
; %bb.1:
	.loc	1 0 16                          ; attention_fwd.py:0:16
	v_mul_lo_u32 v5, s6, v36
	s_delay_alu instid0(VALU_DEP_1) | instskip(NEXT) | instid1(VALU_DEP_1)
	v_ashrrev_i32_e32 v6, 31, v5
	v_lshlrev_b64 v[5:6], 1, v[5:6]
	s_delay_alu instid0(VALU_DEP_1) | instskip(NEXT) | instid1(VALU_DEP_1)
	v_add_co_u32 v5, vcc_lo, s4, v5
	v_add_co_ci_u32_e64 v6, null, s5, v6, vcc_lo
	s_delay_alu instid0(VALU_DEP_2) | instskip(NEXT) | instid1(VALU_DEP_1)
	v_add_co_u32 v5, vcc_lo, v5, v1
	v_add_co_ci_u32_e64 v6, null, v6, v2, vcc_lo
	.loc	1 21 16                         ; attention_fwd.py:21:16
	global_load_u16 v39, v[5:6], off
.LBB0_2:
	.loc	1 0 16                          ; attention_fwd.py:0:16
	s_or_b32 exec_lo, exec_lo, s0
	.loc	1 17 46 is_stmt 1               ; attention_fwd.py:17:46
	v_or_b32_e32 v5, 2, v136
	.loc	1 21 16                         ; attention_fwd.py:21:16
	s_mov_b32 s0, exec_lo
	s_delay_alu instid0(VALU_DEP_1) | instskip(NEXT) | instid1(VALU_DEP_1)
	.loc	1 17 33                         ; attention_fwd.py:17:33
	v_or_b32_e32 v6, s41, v5
	.loc	1 21 47                         ; attention_fwd.py:21:47
	v_cmpx_gt_i32_e64 s100, v6
	.loc	1 21 16 is_stmt 0               ; attention_fwd.py:21:16
	s_cbranch_execz .LBB0_4
; %bb.3:
	.loc	1 20 35 is_stmt 1               ; attention_fwd.py:20:35
	v_mul_lo_u32 v6, s6, v6
	s_delay_alu instid0(VALU_DEP_1) | instskip(NEXT) | instid1(VALU_DEP_1)
	.loc	1 20 17 is_stmt 0               ; attention_fwd.py:20:17
	v_ashrrev_i32_e32 v7, 31, v6
	v_lshlrev_b64 v[6:7], 1, v[6:7]
	s_delay_alu instid0(VALU_DEP_1) | instskip(NEXT) | instid1(VALU_DEP_1)
	v_add_co_u32 v4, vcc_lo, s4, v6
	v_add_co_ci_u32_e64 v7, null, s5, v7, vcc_lo
	s_delay_alu instid0(VALU_DEP_2) | instskip(NEXT) | instid1(VALU_DEP_1)
	.loc	1 20 47                         ; attention_fwd.py:20:47
	v_add_co_u32 v6, vcc_lo, v4, v1
	v_add_co_ci_u32_e64 v7, null, v7, v2, vcc_lo
	.loc	1 21 16 is_stmt 1               ; attention_fwd.py:21:16
	global_load_u16 v4, v[6:7], off
.LBB0_4:
	.loc	1 0 16 is_stmt 0                ; attention_fwd.py:0:16
	s_or_b32 exec_lo, exec_lo, s0
	.loc	1 17 46 is_stmt 1               ; attention_fwd.py:17:46
	v_or_b32_e32 v6, 4, v136
	v_dual_mov_b32 v38, 0 :: v_dual_mov_b32 v41, 0
	.loc	1 21 16                         ; attention_fwd.py:21:16
	s_mov_b32 s0, exec_lo
	s_delay_alu instid0(VALU_DEP_2) | instskip(NEXT) | instid1(VALU_DEP_1)
	.loc	1 17 33                         ; attention_fwd.py:17:33
	v_or_b32_e32 v7, s41, v6
	.loc	1 21 47                         ; attention_fwd.py:21:47
	v_cmpx_gt_i32_e64 s100, v7
	.loc	1 21 16 is_stmt 0               ; attention_fwd.py:21:16
	s_cbranch_execz .LBB0_6
; %bb.5:
	.loc	1 20 35 is_stmt 1               ; attention_fwd.py:20:35
	v_mul_lo_u32 v7, s6, v7
	s_delay_alu instid0(VALU_DEP_1) | instskip(NEXT) | instid1(VALU_DEP_1)
	.loc	1 20 17 is_stmt 0               ; attention_fwd.py:20:17
	v_ashrrev_i32_e32 v8, 31, v7
	v_lshlrev_b64 v[7:8], 1, v[7:8]
	s_delay_alu instid0(VALU_DEP_1) | instskip(NEXT) | instid1(VALU_DEP_1)
	v_add_co_u32 v7, vcc_lo, s4, v7
	v_add_co_ci_u32_e64 v8, null, s5, v8, vcc_lo
	s_delay_alu instid0(VALU_DEP_2) | instskip(NEXT) | instid1(VALU_DEP_1)
	.loc	1 20 47                         ; attention_fwd.py:20:47
	v_add_co_u32 v7, vcc_lo, v7, v1
	v_add_co_ci_u32_e64 v8, null, v8, v2, vcc_lo
	.loc	1 21 16 is_stmt 1               ; attention_fwd.py:21:16
	global_load_u16 v41, v[7:8], off
.LBB0_6:
	.loc	1 0 16 is_stmt 0                ; attention_fwd.py:0:16
	s_or_b32 exec_lo, exec_lo, s0
	.loc	1 17 46 is_stmt 1               ; attention_fwd.py:17:46
	v_or_b32_e32 v7, 6, v136
	.loc	1 21 16                         ; attention_fwd.py:21:16
	s_mov_b32 s0, exec_lo
	s_delay_alu instid0(VALU_DEP_1) | instskip(NEXT) | instid1(VALU_DEP_1)
	.loc	1 17 33                         ; attention_fwd.py:17:33
	v_or_b32_e32 v8, s41, v7
	.loc	1 21 47                         ; attention_fwd.py:21:47
	v_cmpx_gt_i32_e64 s100, v8
	.loc	1 21 16 is_stmt 0               ; attention_fwd.py:21:16
	s_cbranch_execz .LBB0_8
; %bb.7:
	.loc	1 20 35 is_stmt 1               ; attention_fwd.py:20:35
	v_mul_lo_u32 v8, s6, v8
	s_delay_alu instid0(VALU_DEP_1) | instskip(NEXT) | instid1(VALU_DEP_1)
	.loc	1 20 17 is_stmt 0               ; attention_fwd.py:20:17
	v_ashrrev_i32_e32 v9, 31, v8
	v_lshlrev_b64 v[8:9], 1, v[8:9]
	s_delay_alu instid0(VALU_DEP_1) | instskip(NEXT) | instid1(VALU_DEP_1)
	v_add_co_u32 v8, vcc_lo, s4, v8
	v_add_co_ci_u32_e64 v9, null, s5, v9, vcc_lo
	s_delay_alu instid0(VALU_DEP_2) | instskip(NEXT) | instid1(VALU_DEP_1)
	.loc	1 20 47                         ; attention_fwd.py:20:47
	v_add_co_u32 v8, vcc_lo, v8, v1
	v_add_co_ci_u32_e64 v9, null, v9, v2, vcc_lo
	.loc	1 21 16 is_stmt 1               ; attention_fwd.py:21:16
	global_load_u16 v38, v[8:9], off
.LBB0_8:
	.loc	1 0 16 is_stmt 0                ; attention_fwd.py:0:16
	s_or_b32 exec_lo, exec_lo, s0
	.loc	1 17 46 is_stmt 1               ; attention_fwd.py:17:46
	v_or_b32_e32 v8, 8, v136
	v_dual_mov_b32 v40, 0 :: v_dual_mov_b32 v43, 0
	.loc	1 21 16                         ; attention_fwd.py:21:16
	s_mov_b32 s0, exec_lo
	s_delay_alu instid0(VALU_DEP_2) | instskip(NEXT) | instid1(VALU_DEP_1)
	.loc	1 17 33                         ; attention_fwd.py:17:33
	v_or_b32_e32 v9, s41, v8
	.loc	1 21 47                         ; attention_fwd.py:21:47
	v_cmpx_gt_i32_e64 s100, v9
	.loc	1 21 16 is_stmt 0               ; attention_fwd.py:21:16
	s_cbranch_execz .LBB0_10
; %bb.9:
	.loc	1 20 35 is_stmt 1               ; attention_fwd.py:20:35
	v_mul_lo_u32 v9, s6, v9
	s_delay_alu instid0(VALU_DEP_1) | instskip(NEXT) | instid1(VALU_DEP_1)
	.loc	1 20 17 is_stmt 0               ; attention_fwd.py:20:17
	v_ashrrev_i32_e32 v10, 31, v9
	v_lshlrev_b64 v[9:10], 1, v[9:10]
	s_delay_alu instid0(VALU_DEP_1) | instskip(NEXT) | instid1(VALU_DEP_1)
	v_add_co_u32 v9, vcc_lo, s4, v9
	v_add_co_ci_u32_e64 v10, null, s5, v10, vcc_lo
	s_delay_alu instid0(VALU_DEP_2) | instskip(NEXT) | instid1(VALU_DEP_1)
	.loc	1 20 47                         ; attention_fwd.py:20:47
	v_add_co_u32 v9, vcc_lo, v9, v1
	v_add_co_ci_u32_e64 v10, null, v10, v2, vcc_lo
	.loc	1 21 16 is_stmt 1               ; attention_fwd.py:21:16
	global_load_u16 v43, v[9:10], off
.LBB0_10:
	.loc	1 0 16 is_stmt 0                ; attention_fwd.py:0:16
	s_or_b32 exec_lo, exec_lo, s0
	.loc	1 17 46 is_stmt 1               ; attention_fwd.py:17:46
	v_or_b32_e32 v9, 10, v136
	.loc	1 21 16                         ; attention_fwd.py:21:16
	s_mov_b32 s0, exec_lo
	s_delay_alu instid0(VALU_DEP_1) | instskip(NEXT) | instid1(VALU_DEP_1)
	.loc	1 17 33                         ; attention_fwd.py:17:33
	v_or_b32_e32 v10, s41, v9
	.loc	1 21 47                         ; attention_fwd.py:21:47
	v_cmpx_gt_i32_e64 s100, v10
	.loc	1 21 16 is_stmt 0               ; attention_fwd.py:21:16
	s_cbranch_execz .LBB0_12
; %bb.11:
	.loc	1 20 35 is_stmt 1               ; attention_fwd.py:20:35
	v_mul_lo_u32 v10, s6, v10
	s_delay_alu instid0(VALU_DEP_1) | instskip(NEXT) | instid1(VALU_DEP_1)
	.loc	1 20 17 is_stmt 0               ; attention_fwd.py:20:17
	v_ashrrev_i32_e32 v11, 31, v10
	v_lshlrev_b64 v[10:11], 1, v[10:11]
	s_delay_alu instid0(VALU_DEP_1) | instskip(NEXT) | instid1(VALU_DEP_1)
	v_add_co_u32 v10, vcc_lo, s4, v10
	v_add_co_ci_u32_e64 v11, null, s5, v11, vcc_lo
	s_delay_alu instid0(VALU_DEP_2) | instskip(NEXT) | instid1(VALU_DEP_1)
	.loc	1 20 47                         ; attention_fwd.py:20:47
	v_add_co_u32 v10, vcc_lo, v10, v1
	v_add_co_ci_u32_e64 v11, null, v11, v2, vcc_lo
	.loc	1 21 16 is_stmt 1               ; attention_fwd.py:21:16
	global_load_u16 v40, v[10:11], off
.LBB0_12:
	.loc	1 0 16 is_stmt 0                ; attention_fwd.py:0:16
	s_or_b32 exec_lo, exec_lo, s0
	.loc	1 17 46 is_stmt 1               ; attention_fwd.py:17:46
	v_or_b32_e32 v10, 12, v136
	v_mov_b32_e32 v42, 0
	v_mov_b32_e32 v44, 0
	.loc	1 21 16                         ; attention_fwd.py:21:16
	s_mov_b32 s0, exec_lo
	s_delay_alu instid0(VALU_DEP_3) | instskip(NEXT) | instid1(VALU_DEP_1)
	.loc	1 17 33                         ; attention_fwd.py:17:33
	v_or_b32_e32 v11, s41, v10
	.loc	1 21 47                         ; attention_fwd.py:21:47
	v_cmpx_gt_i32_e64 s100, v11
	.loc	1 21 16 is_stmt 0               ; attention_fwd.py:21:16
	s_cbranch_execz .LBB0_14
; %bb.13:
	.loc	1 20 35 is_stmt 1               ; attention_fwd.py:20:35
	v_mul_lo_u32 v11, s6, v11
	s_delay_alu instid0(VALU_DEP_1) | instskip(NEXT) | instid1(VALU_DEP_1)
	.loc	1 20 17 is_stmt 0               ; attention_fwd.py:20:17
	v_ashrrev_i32_e32 v12, 31, v11
	v_lshlrev_b64 v[11:12], 1, v[11:12]
	s_delay_alu instid0(VALU_DEP_1) | instskip(NEXT) | instid1(VALU_DEP_1)
	v_add_co_u32 v11, vcc_lo, s4, v11
	v_add_co_ci_u32_e64 v12, null, s5, v12, vcc_lo
	s_delay_alu instid0(VALU_DEP_2) | instskip(NEXT) | instid1(VALU_DEP_1)
	.loc	1 20 47                         ; attention_fwd.py:20:47
	v_add_co_u32 v11, vcc_lo, v11, v1
	v_add_co_ci_u32_e64 v12, null, v12, v2, vcc_lo
	.loc	1 21 16 is_stmt 1               ; attention_fwd.py:21:16
	global_load_u16 v44, v[11:12], off
.LBB0_14:
	.loc	1 0 16 is_stmt 0                ; attention_fwd.py:0:16
	s_or_b32 exec_lo, exec_lo, s0
	.loc	1 17 46 is_stmt 1               ; attention_fwd.py:17:46
	v_or_b32_e32 v11, 14, v136
	.loc	1 21 16                         ; attention_fwd.py:21:16
	s_mov_b32 s0, exec_lo
	s_delay_alu instid0(VALU_DEP_1) | instskip(NEXT) | instid1(VALU_DEP_1)
	.loc	1 17 33                         ; attention_fwd.py:17:33
	v_or_b32_e32 v12, s41, v11
	.loc	1 21 47                         ; attention_fwd.py:21:47
	v_cmpx_gt_i32_e64 s100, v12
	.loc	1 21 16 is_stmt 0               ; attention_fwd.py:21:16
	s_cbranch_execz .LBB0_16
; %bb.15:
	.loc	1 20 35 is_stmt 1               ; attention_fwd.py:20:35
	v_mul_lo_u32 v12, s6, v12
	s_delay_alu instid0(VALU_DEP_1) | instskip(NEXT) | instid1(VALU_DEP_1)
	.loc	1 20 17 is_stmt 0               ; attention_fwd.py:20:17
	v_ashrrev_i32_e32 v13, 31, v12
	v_lshlrev_b64 v[12:13], 1, v[12:13]
	s_delay_alu instid0(VALU_DEP_1) | instskip(NEXT) | instid1(VALU_DEP_1)
	v_add_co_u32 v12, vcc_lo, s4, v12
	v_add_co_ci_u32_e64 v13, null, s5, v13, vcc_lo
	s_delay_alu instid0(VALU_DEP_2) | instskip(NEXT) | instid1(VALU_DEP_1)
	.loc	1 20 47                         ; attention_fwd.py:20:47
	v_add_co_u32 v12, vcc_lo, v12, v1
	v_add_co_ci_u32_e64 v13, null, v13, v2, vcc_lo
	.loc	1 21 16 is_stmt 1               ; attention_fwd.py:21:16
	global_load_u16 v42, v[12:13], off
.LBB0_16:
	.loc	1 0 16 is_stmt 0                ; attention_fwd.py:0:16
	s_or_b32 exec_lo, exec_lo, s0
	.loc	1 17 46 is_stmt 1               ; attention_fwd.py:17:46
	v_or_b32_e32 v12, 16, v136
	v_mov_b32_e32 v45, 0
	v_mov_b32_e32 v47, 0
	.loc	1 21 16                         ; attention_fwd.py:21:16
	s_mov_b32 s0, exec_lo
	s_delay_alu instid0(VALU_DEP_3) | instskip(NEXT) | instid1(VALU_DEP_1)
	.loc	1 17 33                         ; attention_fwd.py:17:33
	v_or_b32_e32 v13, s41, v12
	.loc	1 21 47                         ; attention_fwd.py:21:47
	v_cmpx_gt_i32_e64 s100, v13
	.loc	1 21 16 is_stmt 0               ; attention_fwd.py:21:16
	s_cbranch_execz .LBB0_18
; %bb.17:
	.loc	1 20 35 is_stmt 1               ; attention_fwd.py:20:35
	v_mul_lo_u32 v13, s6, v13
	s_delay_alu instid0(VALU_DEP_1) | instskip(NEXT) | instid1(VALU_DEP_1)
	.loc	1 20 17 is_stmt 0               ; attention_fwd.py:20:17
	v_ashrrev_i32_e32 v14, 31, v13
	v_lshlrev_b64 v[13:14], 1, v[13:14]
	s_delay_alu instid0(VALU_DEP_1) | instskip(NEXT) | instid1(VALU_DEP_1)
	v_add_co_u32 v13, vcc_lo, s4, v13
	v_add_co_ci_u32_e64 v14, null, s5, v14, vcc_lo
	s_delay_alu instid0(VALU_DEP_2) | instskip(NEXT) | instid1(VALU_DEP_1)
	.loc	1 20 47                         ; attention_fwd.py:20:47
	v_add_co_u32 v13, vcc_lo, v13, v1
	v_add_co_ci_u32_e64 v14, null, v14, v2, vcc_lo
	.loc	1 21 16 is_stmt 1               ; attention_fwd.py:21:16
	global_load_u16 v47, v[13:14], off
.LBB0_18:
	.loc	1 0 16 is_stmt 0                ; attention_fwd.py:0:16
	s_or_b32 exec_lo, exec_lo, s0
	.loc	1 17 46 is_stmt 1               ; attention_fwd.py:17:46
	v_or_b32_e32 v13, 18, v136
	.loc	1 21 16                         ; attention_fwd.py:21:16
	s_mov_b32 s0, exec_lo
	s_delay_alu instid0(VALU_DEP_1) | instskip(NEXT) | instid1(VALU_DEP_1)
	.loc	1 17 33                         ; attention_fwd.py:17:33
	v_or_b32_e32 v14, s41, v13
	.loc	1 21 47                         ; attention_fwd.py:21:47
	v_cmpx_gt_i32_e64 s100, v14
	.loc	1 21 16 is_stmt 0               ; attention_fwd.py:21:16
	s_cbranch_execz .LBB0_20
; %bb.19:
	.loc	1 20 35 is_stmt 1               ; attention_fwd.py:20:35
	v_mul_lo_u32 v14, s6, v14
	s_delay_alu instid0(VALU_DEP_1) | instskip(NEXT) | instid1(VALU_DEP_1)
	.loc	1 20 17 is_stmt 0               ; attention_fwd.py:20:17
	v_ashrrev_i32_e32 v15, 31, v14
	v_lshlrev_b64 v[14:15], 1, v[14:15]
	s_delay_alu instid0(VALU_DEP_1) | instskip(NEXT) | instid1(VALU_DEP_1)
	v_add_co_u32 v14, vcc_lo, s4, v14
	v_add_co_ci_u32_e64 v15, null, s5, v15, vcc_lo
	s_delay_alu instid0(VALU_DEP_2) | instskip(NEXT) | instid1(VALU_DEP_1)
	.loc	1 20 47                         ; attention_fwd.py:20:47
	v_add_co_u32 v14, vcc_lo, v14, v1
	v_add_co_ci_u32_e64 v15, null, v15, v2, vcc_lo
	.loc	1 21 16 is_stmt 1               ; attention_fwd.py:21:16
	global_load_u16 v45, v[14:15], off
.LBB0_20:
	.loc	1 0 16 is_stmt 0                ; attention_fwd.py:0:16
	s_or_b32 exec_lo, exec_lo, s0
	.loc	1 17 46 is_stmt 1               ; attention_fwd.py:17:46
	v_or_b32_e32 v14, 20, v136
	v_dual_mov_b32 v46, 0 :: v_dual_mov_b32 v49, 0
	.loc	1 21 16                         ; attention_fwd.py:21:16
	s_mov_b32 s0, exec_lo
	s_delay_alu instid0(VALU_DEP_2) | instskip(NEXT) | instid1(VALU_DEP_1)
	.loc	1 17 33                         ; attention_fwd.py:17:33
	v_or_b32_e32 v15, s41, v14
	.loc	1 21 47                         ; attention_fwd.py:21:47
	v_cmpx_gt_i32_e64 s100, v15
	.loc	1 21 16 is_stmt 0               ; attention_fwd.py:21:16
	s_cbranch_execz .LBB0_22
; %bb.21:
	.loc	1 20 35 is_stmt 1               ; attention_fwd.py:20:35
	v_mul_lo_u32 v15, s6, v15
	s_delay_alu instid0(VALU_DEP_1) | instskip(NEXT) | instid1(VALU_DEP_1)
	.loc	1 20 17 is_stmt 0               ; attention_fwd.py:20:17
	v_ashrrev_i32_e32 v16, 31, v15
	v_lshlrev_b64 v[15:16], 1, v[15:16]
	s_delay_alu instid0(VALU_DEP_1) | instskip(NEXT) | instid1(VALU_DEP_1)
	v_add_co_u32 v15, vcc_lo, s4, v15
	v_add_co_ci_u32_e64 v16, null, s5, v16, vcc_lo
	s_delay_alu instid0(VALU_DEP_2) | instskip(NEXT) | instid1(VALU_DEP_1)
	.loc	1 20 47                         ; attention_fwd.py:20:47
	v_add_co_u32 v15, vcc_lo, v15, v1
	v_add_co_ci_u32_e64 v16, null, v16, v2, vcc_lo
	.loc	1 21 16 is_stmt 1               ; attention_fwd.py:21:16
	global_load_u16 v49, v[15:16], off
.LBB0_22:
	.loc	1 0 16 is_stmt 0                ; attention_fwd.py:0:16
	s_or_b32 exec_lo, exec_lo, s0
	.loc	1 17 46 is_stmt 1               ; attention_fwd.py:17:46
	v_or_b32_e32 v15, 22, v136
	.loc	1 21 16                         ; attention_fwd.py:21:16
	s_mov_b32 s0, exec_lo
	s_delay_alu instid0(VALU_DEP_1) | instskip(NEXT) | instid1(VALU_DEP_1)
	.loc	1 17 33                         ; attention_fwd.py:17:33
	v_or_b32_e32 v16, s41, v15
	.loc	1 21 47                         ; attention_fwd.py:21:47
	v_cmpx_gt_i32_e64 s100, v16
	.loc	1 21 16 is_stmt 0               ; attention_fwd.py:21:16
	s_cbranch_execz .LBB0_24
; %bb.23:
	.loc	1 20 35 is_stmt 1               ; attention_fwd.py:20:35
	v_mul_lo_u32 v16, s6, v16
	s_delay_alu instid0(VALU_DEP_1) | instskip(NEXT) | instid1(VALU_DEP_1)
	.loc	1 20 17 is_stmt 0               ; attention_fwd.py:20:17
	v_ashrrev_i32_e32 v17, 31, v16
	v_lshlrev_b64 v[16:17], 1, v[16:17]
	s_delay_alu instid0(VALU_DEP_1) | instskip(NEXT) | instid1(VALU_DEP_1)
	v_add_co_u32 v16, vcc_lo, s4, v16
	v_add_co_ci_u32_e64 v17, null, s5, v17, vcc_lo
	s_delay_alu instid0(VALU_DEP_2) | instskip(NEXT) | instid1(VALU_DEP_1)
	.loc	1 20 47                         ; attention_fwd.py:20:47
	v_add_co_u32 v16, vcc_lo, v16, v1
	v_add_co_ci_u32_e64 v17, null, v17, v2, vcc_lo
	.loc	1 21 16 is_stmt 1               ; attention_fwd.py:21:16
	global_load_u16 v46, v[16:17], off
.LBB0_24:
	.loc	1 0 16 is_stmt 0                ; attention_fwd.py:0:16
	s_or_b32 exec_lo, exec_lo, s0
	.loc	1 17 46 is_stmt 1               ; attention_fwd.py:17:46
	v_or_b32_e32 v16, 24, v136
	v_dual_mov_b32 v48, 0 :: v_dual_mov_b32 v51, 0
	.loc	1 21 16                         ; attention_fwd.py:21:16
	s_mov_b32 s0, exec_lo
	s_delay_alu instid0(VALU_DEP_2) | instskip(NEXT) | instid1(VALU_DEP_1)
	.loc	1 17 33                         ; attention_fwd.py:17:33
	v_or_b32_e32 v17, s41, v16
	.loc	1 21 47                         ; attention_fwd.py:21:47
	v_cmpx_gt_i32_e64 s100, v17
	.loc	1 21 16 is_stmt 0               ; attention_fwd.py:21:16
	s_cbranch_execz .LBB0_26
; %bb.25:
	.loc	1 20 35 is_stmt 1               ; attention_fwd.py:20:35
	v_mul_lo_u32 v17, s6, v17
	s_delay_alu instid0(VALU_DEP_1) | instskip(NEXT) | instid1(VALU_DEP_1)
	.loc	1 20 17 is_stmt 0               ; attention_fwd.py:20:17
	v_ashrrev_i32_e32 v18, 31, v17
	v_lshlrev_b64 v[17:18], 1, v[17:18]
	s_delay_alu instid0(VALU_DEP_1) | instskip(NEXT) | instid1(VALU_DEP_1)
	v_add_co_u32 v17, vcc_lo, s4, v17
	v_add_co_ci_u32_e64 v18, null, s5, v18, vcc_lo
	s_delay_alu instid0(VALU_DEP_2) | instskip(NEXT) | instid1(VALU_DEP_1)
	.loc	1 20 47                         ; attention_fwd.py:20:47
	v_add_co_u32 v17, vcc_lo, v17, v1
	v_add_co_ci_u32_e64 v18, null, v18, v2, vcc_lo
	.loc	1 21 16 is_stmt 1               ; attention_fwd.py:21:16
	global_load_u16 v51, v[17:18], off
.LBB0_26:
	.loc	1 0 16 is_stmt 0                ; attention_fwd.py:0:16
	s_or_b32 exec_lo, exec_lo, s0
	.loc	1 17 46 is_stmt 1               ; attention_fwd.py:17:46
	v_or_b32_e32 v17, 26, v136
	.loc	1 21 16                         ; attention_fwd.py:21:16
	s_mov_b32 s0, exec_lo
	s_delay_alu instid0(VALU_DEP_1) | instskip(NEXT) | instid1(VALU_DEP_1)
	.loc	1 17 33                         ; attention_fwd.py:17:33
	v_or_b32_e32 v18, s41, v17
	.loc	1 21 47                         ; attention_fwd.py:21:47
	v_cmpx_gt_i32_e64 s100, v18
	.loc	1 21 16 is_stmt 0               ; attention_fwd.py:21:16
	s_cbranch_execz .LBB0_28
; %bb.27:
	.loc	1 20 35 is_stmt 1               ; attention_fwd.py:20:35
	v_mul_lo_u32 v18, s6, v18
	s_delay_alu instid0(VALU_DEP_1) | instskip(NEXT) | instid1(VALU_DEP_1)
	.loc	1 20 17 is_stmt 0               ; attention_fwd.py:20:17
	v_ashrrev_i32_e32 v19, 31, v18
	v_lshlrev_b64 v[18:19], 1, v[18:19]
	s_delay_alu instid0(VALU_DEP_1) | instskip(NEXT) | instid1(VALU_DEP_1)
	v_add_co_u32 v18, vcc_lo, s4, v18
	v_add_co_ci_u32_e64 v19, null, s5, v19, vcc_lo
	s_delay_alu instid0(VALU_DEP_2) | instskip(NEXT) | instid1(VALU_DEP_1)
	.loc	1 20 47                         ; attention_fwd.py:20:47
	v_add_co_u32 v18, vcc_lo, v18, v1
	v_add_co_ci_u32_e64 v19, null, v19, v2, vcc_lo
	.loc	1 21 16 is_stmt 1               ; attention_fwd.py:21:16
	global_load_u16 v48, v[18:19], off
.LBB0_28:
	.loc	1 0 16 is_stmt 0                ; attention_fwd.py:0:16
	s_or_b32 exec_lo, exec_lo, s0
	.loc	1 17 46 is_stmt 1               ; attention_fwd.py:17:46
	v_or_b32_e32 v18, 28, v136
	v_mov_b32_e32 v50, 0
	v_mov_b32_e32 v52, 0
	.loc	1 21 16                         ; attention_fwd.py:21:16
	s_mov_b32 s0, exec_lo
	s_delay_alu instid0(VALU_DEP_3) | instskip(NEXT) | instid1(VALU_DEP_1)
	.loc	1 17 33                         ; attention_fwd.py:17:33
	v_or_b32_e32 v19, s41, v18
	.loc	1 21 47                         ; attention_fwd.py:21:47
	v_cmpx_gt_i32_e64 s100, v19
	.loc	1 21 16 is_stmt 0               ; attention_fwd.py:21:16
	s_cbranch_execz .LBB0_30
; %bb.29:
	.loc	1 20 35 is_stmt 1               ; attention_fwd.py:20:35
	v_mul_lo_u32 v19, s6, v19
	s_delay_alu instid0(VALU_DEP_1) | instskip(NEXT) | instid1(VALU_DEP_1)
	.loc	1 20 17 is_stmt 0               ; attention_fwd.py:20:17
	v_ashrrev_i32_e32 v20, 31, v19
	v_lshlrev_b64 v[19:20], 1, v[19:20]
	s_delay_alu instid0(VALU_DEP_1) | instskip(NEXT) | instid1(VALU_DEP_1)
	v_add_co_u32 v19, vcc_lo, s4, v19
	v_add_co_ci_u32_e64 v20, null, s5, v20, vcc_lo
	s_delay_alu instid0(VALU_DEP_2) | instskip(NEXT) | instid1(VALU_DEP_1)
	.loc	1 20 47                         ; attention_fwd.py:20:47
	v_add_co_u32 v19, vcc_lo, v19, v1
	v_add_co_ci_u32_e64 v20, null, v20, v2, vcc_lo
	.loc	1 21 16 is_stmt 1               ; attention_fwd.py:21:16
	global_load_u16 v52, v[19:20], off
.LBB0_30:
	.loc	1 0 16 is_stmt 0                ; attention_fwd.py:0:16
	s_or_b32 exec_lo, exec_lo, s0
	.loc	1 17 46 is_stmt 1               ; attention_fwd.py:17:46
	v_or_b32_e32 v19, 30, v136
	.loc	1 21 16                         ; attention_fwd.py:21:16
	s_mov_b32 s0, exec_lo
	s_delay_alu instid0(VALU_DEP_1) | instskip(NEXT) | instid1(VALU_DEP_1)
	.loc	1 17 33                         ; attention_fwd.py:17:33
	v_or_b32_e32 v20, s41, v19
	.loc	1 21 47                         ; attention_fwd.py:21:47
	v_cmpx_gt_i32_e64 s100, v20
	.loc	1 21 16 is_stmt 0               ; attention_fwd.py:21:16
	s_cbranch_execz .LBB0_32
; %bb.31:
	.loc	1 20 35 is_stmt 1               ; attention_fwd.py:20:35
	v_mul_lo_u32 v20, s6, v20
	s_delay_alu instid0(VALU_DEP_1) | instskip(NEXT) | instid1(VALU_DEP_1)
	.loc	1 20 17 is_stmt 0               ; attention_fwd.py:20:17
	v_ashrrev_i32_e32 v21, 31, v20
	v_lshlrev_b64 v[20:21], 1, v[20:21]
	s_delay_alu instid0(VALU_DEP_1) | instskip(NEXT) | instid1(VALU_DEP_1)
	v_add_co_u32 v20, vcc_lo, s4, v20
	v_add_co_ci_u32_e64 v21, null, s5, v21, vcc_lo
	s_delay_alu instid0(VALU_DEP_2) | instskip(NEXT) | instid1(VALU_DEP_1)
	.loc	1 20 47                         ; attention_fwd.py:20:47
	v_add_co_u32 v20, vcc_lo, v20, v1
	v_add_co_ci_u32_e64 v21, null, v21, v2, vcc_lo
	.loc	1 21 16 is_stmt 1               ; attention_fwd.py:21:16
	global_load_u16 v50, v[20:21], off
.LBB0_32:
	.loc	1 0 16 is_stmt 0                ; attention_fwd.py:0:16
	s_or_b32 exec_lo, exec_lo, s0
	.loc	1 17 46 is_stmt 1               ; attention_fwd.py:17:46
	v_or_b32_e32 v20, 32, v136
	v_mov_b32_e32 v53, 0
	v_mov_b32_e32 v55, 0
	.loc	1 21 16                         ; attention_fwd.py:21:16
	s_mov_b32 s0, exec_lo
	s_delay_alu instid0(VALU_DEP_3) | instskip(NEXT) | instid1(VALU_DEP_1)
	.loc	1 17 33                         ; attention_fwd.py:17:33
	v_or_b32_e32 v21, s41, v20
	.loc	1 21 47                         ; attention_fwd.py:21:47
	v_cmpx_gt_i32_e64 s100, v21
	.loc	1 21 16 is_stmt 0               ; attention_fwd.py:21:16
	s_cbranch_execz .LBB0_34
; %bb.33:
	.loc	1 20 35 is_stmt 1               ; attention_fwd.py:20:35
	v_mul_lo_u32 v21, s6, v21
	s_delay_alu instid0(VALU_DEP_1) | instskip(NEXT) | instid1(VALU_DEP_1)
	.loc	1 20 17 is_stmt 0               ; attention_fwd.py:20:17
	v_ashrrev_i32_e32 v22, 31, v21
	v_lshlrev_b64 v[21:22], 1, v[21:22]
	s_delay_alu instid0(VALU_DEP_1) | instskip(NEXT) | instid1(VALU_DEP_1)
	v_add_co_u32 v21, vcc_lo, s4, v21
	v_add_co_ci_u32_e64 v22, null, s5, v22, vcc_lo
	s_delay_alu instid0(VALU_DEP_2) | instskip(NEXT) | instid1(VALU_DEP_1)
	.loc	1 20 47                         ; attention_fwd.py:20:47
	v_add_co_u32 v21, vcc_lo, v21, v1
	v_add_co_ci_u32_e64 v22, null, v22, v2, vcc_lo
	.loc	1 21 16 is_stmt 1               ; attention_fwd.py:21:16
	global_load_u16 v55, v[21:22], off
.LBB0_34:
	.loc	1 0 16 is_stmt 0                ; attention_fwd.py:0:16
	s_or_b32 exec_lo, exec_lo, s0
	.loc	1 17 46 is_stmt 1               ; attention_fwd.py:17:46
	v_or_b32_e32 v21, 34, v136
	.loc	1 21 16                         ; attention_fwd.py:21:16
	s_mov_b32 s0, exec_lo
	s_delay_alu instid0(VALU_DEP_1) | instskip(NEXT) | instid1(VALU_DEP_1)
	.loc	1 17 33                         ; attention_fwd.py:17:33
	v_or_b32_e32 v22, s41, v21
	.loc	1 21 47                         ; attention_fwd.py:21:47
	v_cmpx_gt_i32_e64 s100, v22
	.loc	1 21 16 is_stmt 0               ; attention_fwd.py:21:16
	s_cbranch_execz .LBB0_36
; %bb.35:
	.loc	1 20 35 is_stmt 1               ; attention_fwd.py:20:35
	v_mul_lo_u32 v22, s6, v22
	s_delay_alu instid0(VALU_DEP_1) | instskip(NEXT) | instid1(VALU_DEP_1)
	.loc	1 20 17 is_stmt 0               ; attention_fwd.py:20:17
	v_ashrrev_i32_e32 v23, 31, v22
	v_lshlrev_b64 v[22:23], 1, v[22:23]
	s_delay_alu instid0(VALU_DEP_1) | instskip(NEXT) | instid1(VALU_DEP_1)
	v_add_co_u32 v22, vcc_lo, s4, v22
	v_add_co_ci_u32_e64 v23, null, s5, v23, vcc_lo
	s_delay_alu instid0(VALU_DEP_2) | instskip(NEXT) | instid1(VALU_DEP_1)
	.loc	1 20 47                         ; attention_fwd.py:20:47
	v_add_co_u32 v22, vcc_lo, v22, v1
	v_add_co_ci_u32_e64 v23, null, v23, v2, vcc_lo
	.loc	1 21 16 is_stmt 1               ; attention_fwd.py:21:16
	global_load_u16 v53, v[22:23], off
.LBB0_36:
	.loc	1 0 16 is_stmt 0                ; attention_fwd.py:0:16
	s_or_b32 exec_lo, exec_lo, s0
	.loc	1 17 46 is_stmt 1               ; attention_fwd.py:17:46
	v_or_b32_e32 v22, 36, v136
	v_dual_mov_b32 v54, 0 :: v_dual_mov_b32 v57, 0
	.loc	1 21 16                         ; attention_fwd.py:21:16
	s_mov_b32 s0, exec_lo
	s_delay_alu instid0(VALU_DEP_2) | instskip(NEXT) | instid1(VALU_DEP_1)
	.loc	1 17 33                         ; attention_fwd.py:17:33
	v_or_b32_e32 v23, s41, v22
	.loc	1 21 47                         ; attention_fwd.py:21:47
	v_cmpx_gt_i32_e64 s100, v23
	.loc	1 21 16 is_stmt 0               ; attention_fwd.py:21:16
	s_cbranch_execz .LBB0_38
; %bb.37:
	.loc	1 20 35 is_stmt 1               ; attention_fwd.py:20:35
	v_mul_lo_u32 v23, s6, v23
	s_delay_alu instid0(VALU_DEP_1) | instskip(NEXT) | instid1(VALU_DEP_1)
	.loc	1 20 17 is_stmt 0               ; attention_fwd.py:20:17
	v_ashrrev_i32_e32 v24, 31, v23
	v_lshlrev_b64 v[23:24], 1, v[23:24]
	s_delay_alu instid0(VALU_DEP_1) | instskip(NEXT) | instid1(VALU_DEP_1)
	v_add_co_u32 v23, vcc_lo, s4, v23
	v_add_co_ci_u32_e64 v24, null, s5, v24, vcc_lo
	s_delay_alu instid0(VALU_DEP_2) | instskip(NEXT) | instid1(VALU_DEP_1)
	.loc	1 20 47                         ; attention_fwd.py:20:47
	v_add_co_u32 v23, vcc_lo, v23, v1
	v_add_co_ci_u32_e64 v24, null, v24, v2, vcc_lo
	.loc	1 21 16 is_stmt 1               ; attention_fwd.py:21:16
	global_load_u16 v57, v[23:24], off
.LBB0_38:
	.loc	1 0 16 is_stmt 0                ; attention_fwd.py:0:16
	s_or_b32 exec_lo, exec_lo, s0
	.loc	1 17 46 is_stmt 1               ; attention_fwd.py:17:46
	v_or_b32_e32 v23, 38, v136
	.loc	1 21 16                         ; attention_fwd.py:21:16
	s_mov_b32 s0, exec_lo
	s_delay_alu instid0(VALU_DEP_1) | instskip(NEXT) | instid1(VALU_DEP_1)
	.loc	1 17 33                         ; attention_fwd.py:17:33
	v_or_b32_e32 v24, s41, v23
	.loc	1 21 47                         ; attention_fwd.py:21:47
	v_cmpx_gt_i32_e64 s100, v24
	.loc	1 21 16 is_stmt 0               ; attention_fwd.py:21:16
	s_cbranch_execz .LBB0_40
; %bb.39:
	.loc	1 20 35 is_stmt 1               ; attention_fwd.py:20:35
	v_mul_lo_u32 v24, s6, v24
	s_delay_alu instid0(VALU_DEP_1) | instskip(NEXT) | instid1(VALU_DEP_1)
	.loc	1 20 17 is_stmt 0               ; attention_fwd.py:20:17
	v_ashrrev_i32_e32 v25, 31, v24
	v_lshlrev_b64 v[24:25], 1, v[24:25]
	s_delay_alu instid0(VALU_DEP_1) | instskip(NEXT) | instid1(VALU_DEP_1)
	v_add_co_u32 v24, vcc_lo, s4, v24
	v_add_co_ci_u32_e64 v25, null, s5, v25, vcc_lo
	s_delay_alu instid0(VALU_DEP_2) | instskip(NEXT) | instid1(VALU_DEP_1)
	.loc	1 20 47                         ; attention_fwd.py:20:47
	v_add_co_u32 v24, vcc_lo, v24, v1
	v_add_co_ci_u32_e64 v25, null, v25, v2, vcc_lo
	.loc	1 21 16 is_stmt 1               ; attention_fwd.py:21:16
	global_load_u16 v54, v[24:25], off
.LBB0_40:
	.loc	1 0 16 is_stmt 0                ; attention_fwd.py:0:16
	s_or_b32 exec_lo, exec_lo, s0
	.loc	1 17 46 is_stmt 1               ; attention_fwd.py:17:46
	v_or_b32_e32 v24, 40, v136
	v_dual_mov_b32 v56, 0 :: v_dual_mov_b32 v59, 0
	.loc	1 21 16                         ; attention_fwd.py:21:16
	s_mov_b32 s0, exec_lo
	s_delay_alu instid0(VALU_DEP_2) | instskip(NEXT) | instid1(VALU_DEP_1)
	.loc	1 17 33                         ; attention_fwd.py:17:33
	v_or_b32_e32 v25, s41, v24
	.loc	1 21 47                         ; attention_fwd.py:21:47
	v_cmpx_gt_i32_e64 s100, v25
	.loc	1 21 16 is_stmt 0               ; attention_fwd.py:21:16
	s_cbranch_execz .LBB0_42
; %bb.41:
	.loc	1 20 35 is_stmt 1               ; attention_fwd.py:20:35
	v_mul_lo_u32 v25, s6, v25
	s_delay_alu instid0(VALU_DEP_1) | instskip(NEXT) | instid1(VALU_DEP_1)
	.loc	1 20 17 is_stmt 0               ; attention_fwd.py:20:17
	v_ashrrev_i32_e32 v26, 31, v25
	v_lshlrev_b64 v[25:26], 1, v[25:26]
	s_delay_alu instid0(VALU_DEP_1) | instskip(NEXT) | instid1(VALU_DEP_1)
	v_add_co_u32 v25, vcc_lo, s4, v25
	v_add_co_ci_u32_e64 v26, null, s5, v26, vcc_lo
	s_delay_alu instid0(VALU_DEP_2) | instskip(NEXT) | instid1(VALU_DEP_1)
	.loc	1 20 47                         ; attention_fwd.py:20:47
	v_add_co_u32 v25, vcc_lo, v25, v1
	v_add_co_ci_u32_e64 v26, null, v26, v2, vcc_lo
	.loc	1 21 16 is_stmt 1               ; attention_fwd.py:21:16
	global_load_u16 v59, v[25:26], off
.LBB0_42:
	.loc	1 0 16 is_stmt 0                ; attention_fwd.py:0:16
	s_or_b32 exec_lo, exec_lo, s0
	.loc	1 17 46 is_stmt 1               ; attention_fwd.py:17:46
	v_or_b32_e32 v25, 42, v136
	.loc	1 21 16                         ; attention_fwd.py:21:16
	s_mov_b32 s0, exec_lo
	s_delay_alu instid0(VALU_DEP_1) | instskip(NEXT) | instid1(VALU_DEP_1)
	.loc	1 17 33                         ; attention_fwd.py:17:33
	v_or_b32_e32 v26, s41, v25
	.loc	1 21 47                         ; attention_fwd.py:21:47
	v_cmpx_gt_i32_e64 s100, v26
	.loc	1 21 16 is_stmt 0               ; attention_fwd.py:21:16
	s_cbranch_execz .LBB0_44
; %bb.43:
	.loc	1 20 35 is_stmt 1               ; attention_fwd.py:20:35
	v_mul_lo_u32 v26, s6, v26
	s_delay_alu instid0(VALU_DEP_1) | instskip(NEXT) | instid1(VALU_DEP_1)
	.loc	1 20 17 is_stmt 0               ; attention_fwd.py:20:17
	v_ashrrev_i32_e32 v27, 31, v26
	v_lshlrev_b64 v[26:27], 1, v[26:27]
	s_delay_alu instid0(VALU_DEP_1) | instskip(NEXT) | instid1(VALU_DEP_1)
	v_add_co_u32 v26, vcc_lo, s4, v26
	v_add_co_ci_u32_e64 v27, null, s5, v27, vcc_lo
	s_delay_alu instid0(VALU_DEP_2) | instskip(NEXT) | instid1(VALU_DEP_1)
	.loc	1 20 47                         ; attention_fwd.py:20:47
	v_add_co_u32 v26, vcc_lo, v26, v1
	v_add_co_ci_u32_e64 v27, null, v27, v2, vcc_lo
	.loc	1 21 16 is_stmt 1               ; attention_fwd.py:21:16
	global_load_u16 v56, v[26:27], off
.LBB0_44:
	.loc	1 0 16 is_stmt 0                ; attention_fwd.py:0:16
	s_or_b32 exec_lo, exec_lo, s0
	.loc	1 17 46 is_stmt 1               ; attention_fwd.py:17:46
	v_or_b32_e32 v26, 44, v136
	v_mov_b32_e32 v58, 0
	v_mov_b32_e32 v60, 0
	.loc	1 21 16                         ; attention_fwd.py:21:16
	s_mov_b32 s0, exec_lo
	s_delay_alu instid0(VALU_DEP_3) | instskip(NEXT) | instid1(VALU_DEP_1)
	.loc	1 17 33                         ; attention_fwd.py:17:33
	v_or_b32_e32 v27, s41, v26
	.loc	1 21 47                         ; attention_fwd.py:21:47
	v_cmpx_gt_i32_e64 s100, v27
	.loc	1 21 16 is_stmt 0               ; attention_fwd.py:21:16
	s_cbranch_execz .LBB0_46
; %bb.45:
	.loc	1 20 35 is_stmt 1               ; attention_fwd.py:20:35
	v_mul_lo_u32 v27, s6, v27
	s_delay_alu instid0(VALU_DEP_1) | instskip(NEXT) | instid1(VALU_DEP_1)
	.loc	1 20 17 is_stmt 0               ; attention_fwd.py:20:17
	v_ashrrev_i32_e32 v28, 31, v27
	v_lshlrev_b64 v[27:28], 1, v[27:28]
	s_delay_alu instid0(VALU_DEP_1) | instskip(NEXT) | instid1(VALU_DEP_1)
	v_add_co_u32 v27, vcc_lo, s4, v27
	v_add_co_ci_u32_e64 v28, null, s5, v28, vcc_lo
	s_delay_alu instid0(VALU_DEP_2) | instskip(NEXT) | instid1(VALU_DEP_1)
	.loc	1 20 47                         ; attention_fwd.py:20:47
	v_add_co_u32 v27, vcc_lo, v27, v1
	v_add_co_ci_u32_e64 v28, null, v28, v2, vcc_lo
	.loc	1 21 16 is_stmt 1               ; attention_fwd.py:21:16
	global_load_u16 v60, v[27:28], off
.LBB0_46:
	.loc	1 0 16 is_stmt 0                ; attention_fwd.py:0:16
	s_or_b32 exec_lo, exec_lo, s0
	.loc	1 17 46 is_stmt 1               ; attention_fwd.py:17:46
	v_or_b32_e32 v27, 46, v136
	.loc	1 21 16                         ; attention_fwd.py:21:16
	s_mov_b32 s0, exec_lo
	s_delay_alu instid0(VALU_DEP_1) | instskip(NEXT) | instid1(VALU_DEP_1)
	.loc	1 17 33                         ; attention_fwd.py:17:33
	v_or_b32_e32 v28, s41, v27
	.loc	1 21 47                         ; attention_fwd.py:21:47
	v_cmpx_gt_i32_e64 s100, v28
	.loc	1 21 16 is_stmt 0               ; attention_fwd.py:21:16
	s_cbranch_execz .LBB0_48
; %bb.47:
	.loc	1 20 35 is_stmt 1               ; attention_fwd.py:20:35
	v_mul_lo_u32 v28, s6, v28
	s_delay_alu instid0(VALU_DEP_1) | instskip(NEXT) | instid1(VALU_DEP_1)
	.loc	1 20 17 is_stmt 0               ; attention_fwd.py:20:17
	v_ashrrev_i32_e32 v29, 31, v28
	v_lshlrev_b64 v[28:29], 1, v[28:29]
	s_delay_alu instid0(VALU_DEP_1) | instskip(NEXT) | instid1(VALU_DEP_1)
	v_add_co_u32 v28, vcc_lo, s4, v28
	v_add_co_ci_u32_e64 v29, null, s5, v29, vcc_lo
	s_delay_alu instid0(VALU_DEP_2) | instskip(NEXT) | instid1(VALU_DEP_1)
	.loc	1 20 47                         ; attention_fwd.py:20:47
	v_add_co_u32 v28, vcc_lo, v28, v1
	v_add_co_ci_u32_e64 v29, null, v29, v2, vcc_lo
	.loc	1 21 16 is_stmt 1               ; attention_fwd.py:21:16
	global_load_u16 v58, v[28:29], off
.LBB0_48:
	.loc	1 0 16 is_stmt 0                ; attention_fwd.py:0:16
	s_or_b32 exec_lo, exec_lo, s0
	.loc	1 17 46 is_stmt 1               ; attention_fwd.py:17:46
	v_or_b32_e32 v28, 48, v136
	v_mov_b32_e32 v61, 0
	v_mov_b32_e32 v63, 0
	.loc	1 21 16                         ; attention_fwd.py:21:16
	s_mov_b32 s0, exec_lo
	s_delay_alu instid0(VALU_DEP_3) | instskip(NEXT) | instid1(VALU_DEP_1)
	.loc	1 17 33                         ; attention_fwd.py:17:33
	v_or_b32_e32 v29, s41, v28
	.loc	1 21 47                         ; attention_fwd.py:21:47
	v_cmpx_gt_i32_e64 s100, v29
	.loc	1 21 16 is_stmt 0               ; attention_fwd.py:21:16
	s_cbranch_execz .LBB0_50
; %bb.49:
	.loc	1 20 35 is_stmt 1               ; attention_fwd.py:20:35
	v_mul_lo_u32 v29, s6, v29
	s_delay_alu instid0(VALU_DEP_1) | instskip(NEXT) | instid1(VALU_DEP_1)
	.loc	1 20 17 is_stmt 0               ; attention_fwd.py:20:17
	v_ashrrev_i32_e32 v30, 31, v29
	v_lshlrev_b64 v[29:30], 1, v[29:30]
	s_delay_alu instid0(VALU_DEP_1) | instskip(NEXT) | instid1(VALU_DEP_1)
	v_add_co_u32 v29, vcc_lo, s4, v29
	v_add_co_ci_u32_e64 v30, null, s5, v30, vcc_lo
	s_delay_alu instid0(VALU_DEP_2) | instskip(NEXT) | instid1(VALU_DEP_1)
	.loc	1 20 47                         ; attention_fwd.py:20:47
	v_add_co_u32 v29, vcc_lo, v29, v1
	v_add_co_ci_u32_e64 v30, null, v30, v2, vcc_lo
	.loc	1 21 16 is_stmt 1               ; attention_fwd.py:21:16
	global_load_u16 v63, v[29:30], off
.LBB0_50:
	.loc	1 0 16 is_stmt 0                ; attention_fwd.py:0:16
	s_or_b32 exec_lo, exec_lo, s0
	.loc	1 17 46 is_stmt 1               ; attention_fwd.py:17:46
	v_or_b32_e32 v29, 50, v136
	.loc	1 21 16                         ; attention_fwd.py:21:16
	s_mov_b32 s0, exec_lo
	s_delay_alu instid0(VALU_DEP_1) | instskip(NEXT) | instid1(VALU_DEP_1)
	.loc	1 17 33                         ; attention_fwd.py:17:33
	v_or_b32_e32 v30, s41, v29
	.loc	1 21 47                         ; attention_fwd.py:21:47
	v_cmpx_gt_i32_e64 s100, v30
	.loc	1 21 16 is_stmt 0               ; attention_fwd.py:21:16
	s_cbranch_execz .LBB0_52
; %bb.51:
	.loc	1 20 35 is_stmt 1               ; attention_fwd.py:20:35
	v_mul_lo_u32 v30, s6, v30
	s_delay_alu instid0(VALU_DEP_1) | instskip(NEXT) | instid1(VALU_DEP_1)
	.loc	1 20 17 is_stmt 0               ; attention_fwd.py:20:17
	v_ashrrev_i32_e32 v31, 31, v30
	v_lshlrev_b64 v[30:31], 1, v[30:31]
	s_delay_alu instid0(VALU_DEP_1) | instskip(NEXT) | instid1(VALU_DEP_1)
	v_add_co_u32 v30, vcc_lo, s4, v30
	v_add_co_ci_u32_e64 v31, null, s5, v31, vcc_lo
	s_delay_alu instid0(VALU_DEP_2) | instskip(NEXT) | instid1(VALU_DEP_1)
	.loc	1 20 47                         ; attention_fwd.py:20:47
	v_add_co_u32 v30, vcc_lo, v30, v1
	v_add_co_ci_u32_e64 v31, null, v31, v2, vcc_lo
	.loc	1 21 16 is_stmt 1               ; attention_fwd.py:21:16
	global_load_u16 v61, v[30:31], off
.LBB0_52:
	.loc	1 0 16 is_stmt 0                ; attention_fwd.py:0:16
	s_or_b32 exec_lo, exec_lo, s0
	.loc	1 17 46 is_stmt 1               ; attention_fwd.py:17:46
	v_or_b32_e32 v30, 52, v136
	v_dual_mov_b32 v62, 0 :: v_dual_mov_b32 v65, 0
	.loc	1 21 16                         ; attention_fwd.py:21:16
	s_mov_b32 s0, exec_lo
	s_delay_alu instid0(VALU_DEP_2) | instskip(NEXT) | instid1(VALU_DEP_1)
	.loc	1 17 33                         ; attention_fwd.py:17:33
	v_or_b32_e32 v31, s41, v30
	.loc	1 21 47                         ; attention_fwd.py:21:47
	v_cmpx_gt_i32_e64 s100, v31
	.loc	1 21 16 is_stmt 0               ; attention_fwd.py:21:16
	s_cbranch_execz .LBB0_54
; %bb.53:
	.loc	1 20 35 is_stmt 1               ; attention_fwd.py:20:35
	v_mul_lo_u32 v31, s6, v31
	s_delay_alu instid0(VALU_DEP_1) | instskip(NEXT) | instid1(VALU_DEP_1)
	.loc	1 20 17 is_stmt 0               ; attention_fwd.py:20:17
	v_ashrrev_i32_e32 v32, 31, v31
	v_lshlrev_b64 v[31:32], 1, v[31:32]
	s_delay_alu instid0(VALU_DEP_1) | instskip(NEXT) | instid1(VALU_DEP_1)
	v_add_co_u32 v31, vcc_lo, s4, v31
	v_add_co_ci_u32_e64 v32, null, s5, v32, vcc_lo
	s_delay_alu instid0(VALU_DEP_2) | instskip(NEXT) | instid1(VALU_DEP_1)
	.loc	1 20 47                         ; attention_fwd.py:20:47
	v_add_co_u32 v31, vcc_lo, v31, v1
	v_add_co_ci_u32_e64 v32, null, v32, v2, vcc_lo
	.loc	1 21 16 is_stmt 1               ; attention_fwd.py:21:16
	global_load_u16 v65, v[31:32], off
.LBB0_54:
	.loc	1 0 16 is_stmt 0                ; attention_fwd.py:0:16
	s_or_b32 exec_lo, exec_lo, s0
	.loc	1 17 46 is_stmt 1               ; attention_fwd.py:17:46
	v_or_b32_e32 v31, 54, v136
	.loc	1 21 16                         ; attention_fwd.py:21:16
	s_mov_b32 s0, exec_lo
	s_delay_alu instid0(VALU_DEP_1) | instskip(NEXT) | instid1(VALU_DEP_1)
	.loc	1 17 33                         ; attention_fwd.py:17:33
	v_or_b32_e32 v32, s41, v31
	.loc	1 21 47                         ; attention_fwd.py:21:47
	v_cmpx_gt_i32_e64 s100, v32
	.loc	1 21 16 is_stmt 0               ; attention_fwd.py:21:16
	s_cbranch_execz .LBB0_56
; %bb.55:
	.loc	1 20 35 is_stmt 1               ; attention_fwd.py:20:35
	v_mul_lo_u32 v32, s6, v32
	s_delay_alu instid0(VALU_DEP_1) | instskip(NEXT) | instid1(VALU_DEP_1)
	.loc	1 20 17 is_stmt 0               ; attention_fwd.py:20:17
	v_ashrrev_i32_e32 v33, 31, v32
	v_lshlrev_b64 v[32:33], 1, v[32:33]
	s_delay_alu instid0(VALU_DEP_1) | instskip(NEXT) | instid1(VALU_DEP_1)
	v_add_co_u32 v32, vcc_lo, s4, v32
	v_add_co_ci_u32_e64 v33, null, s5, v33, vcc_lo
	s_delay_alu instid0(VALU_DEP_2) | instskip(NEXT) | instid1(VALU_DEP_1)
	.loc	1 20 47                         ; attention_fwd.py:20:47
	v_add_co_u32 v32, vcc_lo, v32, v1
	v_add_co_ci_u32_e64 v33, null, v33, v2, vcc_lo
	.loc	1 21 16 is_stmt 1               ; attention_fwd.py:21:16
	global_load_u16 v62, v[32:33], off
.LBB0_56:
	.loc	1 0 16 is_stmt 0                ; attention_fwd.py:0:16
	s_or_b32 exec_lo, exec_lo, s0
	.loc	1 17 46 is_stmt 1               ; attention_fwd.py:17:46
	v_or_b32_e32 v32, 56, v136
	v_dual_mov_b32 v64, 0 :: v_dual_mov_b32 v67, 0
	.loc	1 21 16                         ; attention_fwd.py:21:16
	s_mov_b32 s0, exec_lo
	s_delay_alu instid0(VALU_DEP_2) | instskip(NEXT) | instid1(VALU_DEP_1)
	.loc	1 17 33                         ; attention_fwd.py:17:33
	v_or_b32_e32 v33, s41, v32
	.loc	1 21 47                         ; attention_fwd.py:21:47
	v_cmpx_gt_i32_e64 s100, v33
	.loc	1 21 16 is_stmt 0               ; attention_fwd.py:21:16
	s_cbranch_execz .LBB0_58
; %bb.57:
	.loc	1 20 35 is_stmt 1               ; attention_fwd.py:20:35
	v_mul_lo_u32 v33, s6, v33
	s_delay_alu instid0(VALU_DEP_1) | instskip(NEXT) | instid1(VALU_DEP_1)
	.loc	1 20 17 is_stmt 0               ; attention_fwd.py:20:17
	v_ashrrev_i32_e32 v34, 31, v33
	v_lshlrev_b64 v[33:34], 1, v[33:34]
	s_delay_alu instid0(VALU_DEP_1) | instskip(NEXT) | instid1(VALU_DEP_1)
	v_add_co_u32 v33, vcc_lo, s4, v33
	v_add_co_ci_u32_e64 v34, null, s5, v34, vcc_lo
	s_delay_alu instid0(VALU_DEP_2) | instskip(NEXT) | instid1(VALU_DEP_1)
	.loc	1 20 47                         ; attention_fwd.py:20:47
	v_add_co_u32 v33, vcc_lo, v33, v1
	v_add_co_ci_u32_e64 v34, null, v34, v2, vcc_lo
	.loc	1 21 16 is_stmt 1               ; attention_fwd.py:21:16
	global_load_u16 v67, v[33:34], off
.LBB0_58:
	.loc	1 0 16 is_stmt 0                ; attention_fwd.py:0:16
	s_or_b32 exec_lo, exec_lo, s0
	.loc	1 17 46 is_stmt 1               ; attention_fwd.py:17:46
	v_or_b32_e32 v33, 58, v136
	.loc	1 21 16                         ; attention_fwd.py:21:16
	s_mov_b32 s0, exec_lo
	s_delay_alu instid0(VALU_DEP_1) | instskip(NEXT) | instid1(VALU_DEP_1)
	.loc	1 17 33                         ; attention_fwd.py:17:33
	v_or_b32_e32 v34, s41, v33
	.loc	1 21 47                         ; attention_fwd.py:21:47
	v_cmpx_gt_i32_e64 s100, v34
	.loc	1 21 16 is_stmt 0               ; attention_fwd.py:21:16
	s_cbranch_execz .LBB0_60
; %bb.59:
	.loc	1 20 35 is_stmt 1               ; attention_fwd.py:20:35
	v_mul_lo_u32 v34, s6, v34
	s_delay_alu instid0(VALU_DEP_1) | instskip(NEXT) | instid1(VALU_DEP_1)
	.loc	1 20 17 is_stmt 0               ; attention_fwd.py:20:17
	v_ashrrev_i32_e32 v35, 31, v34
	v_lshlrev_b64 v[34:35], 1, v[34:35]
	s_delay_alu instid0(VALU_DEP_1) | instskip(NEXT) | instid1(VALU_DEP_1)
	v_add_co_u32 v34, vcc_lo, s4, v34
	v_add_co_ci_u32_e64 v35, null, s5, v35, vcc_lo
	s_delay_alu instid0(VALU_DEP_2) | instskip(NEXT) | instid1(VALU_DEP_1)
	.loc	1 20 47                         ; attention_fwd.py:20:47
	v_add_co_u32 v34, vcc_lo, v34, v1
	v_add_co_ci_u32_e64 v35, null, v35, v2, vcc_lo
	.loc	1 21 16 is_stmt 1               ; attention_fwd.py:21:16
	global_load_u16 v64, v[34:35], off
.LBB0_60:
	.loc	1 0 16 is_stmt 0                ; attention_fwd.py:0:16
	s_or_b32 exec_lo, exec_lo, s0
	.loc	1 17 46 is_stmt 1               ; attention_fwd.py:17:46
	v_or_b32_e32 v34, 60, v136
	v_mov_b32_e32 v66, 0
	v_mov_b32_e32 v68, 0
	.loc	1 21 16                         ; attention_fwd.py:21:16
	s_mov_b32 s0, exec_lo
	s_delay_alu instid0(VALU_DEP_3) | instskip(NEXT) | instid1(VALU_DEP_1)
	.loc	1 17 33                         ; attention_fwd.py:17:33
	v_or_b32_e32 v35, s41, v34
	.loc	1 21 47                         ; attention_fwd.py:21:47
	v_cmpx_gt_i32_e64 s100, v35
	.loc	1 21 16 is_stmt 0               ; attention_fwd.py:21:16
	s_cbranch_execz .LBB0_62
; %bb.61:
	.loc	1 20 35 is_stmt 1               ; attention_fwd.py:20:35
	v_mul_lo_u32 v68, s6, v35
	s_delay_alu instid0(VALU_DEP_1) | instskip(NEXT) | instid1(VALU_DEP_1)
	.loc	1 20 17 is_stmt 0               ; attention_fwd.py:20:17
	v_ashrrev_i32_e32 v69, 31, v68
	v_lshlrev_b64 v[68:69], 1, v[68:69]
	s_delay_alu instid0(VALU_DEP_1) | instskip(NEXT) | instid1(VALU_DEP_1)
	v_add_co_u32 v35, vcc_lo, s4, v68
	v_add_co_ci_u32_e64 v37, null, s5, v69, vcc_lo
	s_delay_alu instid0(VALU_DEP_2) | instskip(NEXT) | instid1(VALU_DEP_1)
	.loc	1 20 47                         ; attention_fwd.py:20:47
	v_add_co_u32 v68, vcc_lo, v35, v1
	v_add_co_ci_u32_e64 v69, null, v37, v2, vcc_lo
	.loc	1 21 16 is_stmt 1               ; attention_fwd.py:21:16
	global_load_u16 v68, v[68:69], off
.LBB0_62:
	.loc	1 0 16 is_stmt 0                ; attention_fwd.py:0:16
	s_or_b32 exec_lo, exec_lo, s0
	.loc	1 17 46 is_stmt 1               ; attention_fwd.py:17:46
	v_or_b32_e32 v35, 62, v136
	.loc	1 21 16                         ; attention_fwd.py:21:16
	s_mov_b32 s0, exec_lo
	s_delay_alu instid0(VALU_DEP_1) | instskip(NEXT) | instid1(VALU_DEP_1)
	.loc	1 17 33                         ; attention_fwd.py:17:33
	v_or_b32_e32 v37, s41, v35
	.loc	1 21 47                         ; attention_fwd.py:21:47
	v_cmpx_gt_i32_e64 s100, v37
	.loc	1 21 16 is_stmt 0               ; attention_fwd.py:21:16
	s_cbranch_execz .LBB0_64
; %bb.63:
	.loc	1 20 35 is_stmt 1               ; attention_fwd.py:20:35
	v_mul_lo_u32 v69, s6, v37
	s_delay_alu instid0(VALU_DEP_1) | instskip(NEXT) | instid1(VALU_DEP_1)
	.loc	1 20 17 is_stmt 0               ; attention_fwd.py:20:17
	v_ashrrev_i32_e32 v70, 31, v69
	v_lshlrev_b64 v[69:70], 1, v[69:70]
	s_delay_alu instid0(VALU_DEP_1) | instskip(NEXT) | instid1(VALU_DEP_1)
	v_add_co_u32 v37, vcc_lo, s4, v69
	v_add_co_ci_u32_e64 v66, null, s5, v70, vcc_lo
	s_delay_alu instid0(VALU_DEP_2) | instskip(NEXT) | instid1(VALU_DEP_1)
	.loc	1 20 47                         ; attention_fwd.py:20:47
	v_add_co_u32 v69, vcc_lo, v37, v1
	v_add_co_ci_u32_e64 v70, null, v66, v2, vcc_lo
	.loc	1 21 16 is_stmt 1               ; attention_fwd.py:21:16
	global_load_u16 v66, v[69:70], off
.LBB0_64:
	.loc	1 0 16 is_stmt 0                ; attention_fwd.py:0:16
	s_or_b32 exec_lo, exec_lo, s0
	.loc	1 17 33 is_stmt 1               ; attention_fwd.py:17:33
	v_or_b32_e32 v37, 64, v36
	v_mov_b32_e32 v69, 0
	v_mov_b32_e32 v71, 0
	.loc	1 21 16                         ; attention_fwd.py:21:16
	s_mov_b32 s0, exec_lo
	s_delay_alu instid0(VALU_DEP_3)
	.loc	1 21 47 is_stmt 0               ; attention_fwd.py:21:47
	v_cmpx_gt_i32_e64 s100, v37
	.loc	1 21 16                         ; attention_fwd.py:21:16
	s_cbranch_execz .LBB0_66
; %bb.65:
	.loc	1 20 35 is_stmt 1               ; attention_fwd.py:20:35
	v_mul_lo_u32 v70, s6, v37
	s_delay_alu instid0(VALU_DEP_1) | instskip(NEXT) | instid1(VALU_DEP_1)
	.loc	1 20 17 is_stmt 0               ; attention_fwd.py:20:17
	v_ashrrev_i32_e32 v71, 31, v70
	v_lshlrev_b64 v[70:71], 1, v[70:71]
	s_delay_alu instid0(VALU_DEP_1) | instskip(NEXT) | instid1(VALU_DEP_1)
	v_add_co_u32 v37, vcc_lo, s4, v70
	v_add_co_ci_u32_e64 v71, null, s5, v71, vcc_lo
	s_delay_alu instid0(VALU_DEP_2) | instskip(NEXT) | instid1(VALU_DEP_1)
	.loc	1 20 47                         ; attention_fwd.py:20:47
	v_add_co_u32 v70, vcc_lo, v37, v1
	v_add_co_ci_u32_e64 v71, null, v71, v2, vcc_lo
	.loc	1 21 16 is_stmt 1               ; attention_fwd.py:21:16
	global_load_u16 v71, v[70:71], off
.LBB0_66:
	.loc	1 0 16 is_stmt 0                ; attention_fwd.py:0:16
	s_or_b32 exec_lo, exec_lo, s0
	.loc	1 17 33 is_stmt 1               ; attention_fwd.py:17:33
	v_or_b32_e32 v37, 0x42, v36
	.loc	1 21 16                         ; attention_fwd.py:21:16
	s_mov_b32 s0, exec_lo
	s_delay_alu instid0(VALU_DEP_1)
	.loc	1 21 47 is_stmt 0               ; attention_fwd.py:21:47
	v_cmpx_gt_i32_e64 s100, v37
	.loc	1 21 16                         ; attention_fwd.py:21:16
	s_cbranch_execz .LBB0_68
; %bb.67:
	.loc	1 20 35 is_stmt 1               ; attention_fwd.py:20:35
	v_mul_lo_u32 v69, s6, v37
	s_delay_alu instid0(VALU_DEP_1) | instskip(NEXT) | instid1(VALU_DEP_1)
	.loc	1 20 17 is_stmt 0               ; attention_fwd.py:20:17
	v_ashrrev_i32_e32 v70, 31, v69
	v_lshlrev_b64 v[69:70], 1, v[69:70]
	s_delay_alu instid0(VALU_DEP_1) | instskip(NEXT) | instid1(VALU_DEP_1)
	v_add_co_u32 v37, vcc_lo, s4, v69
	v_add_co_ci_u32_e64 v70, null, s5, v70, vcc_lo
	s_delay_alu instid0(VALU_DEP_2) | instskip(NEXT) | instid1(VALU_DEP_1)
	.loc	1 20 47                         ; attention_fwd.py:20:47
	v_add_co_u32 v69, vcc_lo, v37, v1
	v_add_co_ci_u32_e64 v70, null, v70, v2, vcc_lo
	.loc	1 21 16 is_stmt 1               ; attention_fwd.py:21:16
	global_load_u16 v69, v[69:70], off
.LBB0_68:
	.loc	1 0 16 is_stmt 0                ; attention_fwd.py:0:16
	s_or_b32 exec_lo, exec_lo, s0
	.loc	1 17 33 is_stmt 1               ; attention_fwd.py:17:33
	v_or_b32_e32 v37, 0x44, v36
	v_dual_mov_b32 v70, 0 :: v_dual_mov_b32 v73, 0
	.loc	1 21 16                         ; attention_fwd.py:21:16
	s_mov_b32 s0, exec_lo
	s_delay_alu instid0(VALU_DEP_2)
	.loc	1 21 47 is_stmt 0               ; attention_fwd.py:21:47
	v_cmpx_gt_i32_e64 s100, v37
	.loc	1 21 16                         ; attention_fwd.py:21:16
	s_cbranch_execz .LBB0_70
; %bb.69:
	.loc	1 20 35 is_stmt 1               ; attention_fwd.py:20:35
	v_mul_lo_u32 v72, s6, v37
	s_delay_alu instid0(VALU_DEP_1) | instskip(NEXT) | instid1(VALU_DEP_1)
	.loc	1 20 17 is_stmt 0               ; attention_fwd.py:20:17
	v_ashrrev_i32_e32 v73, 31, v72
	v_lshlrev_b64 v[72:73], 1, v[72:73]
	s_delay_alu instid0(VALU_DEP_1) | instskip(NEXT) | instid1(VALU_DEP_1)
	v_add_co_u32 v37, vcc_lo, s4, v72
	v_add_co_ci_u32_e64 v73, null, s5, v73, vcc_lo
	s_delay_alu instid0(VALU_DEP_2) | instskip(NEXT) | instid1(VALU_DEP_1)
	.loc	1 20 47                         ; attention_fwd.py:20:47
	v_add_co_u32 v72, vcc_lo, v37, v1
	v_add_co_ci_u32_e64 v73, null, v73, v2, vcc_lo
	.loc	1 21 16 is_stmt 1               ; attention_fwd.py:21:16
	global_load_u16 v73, v[72:73], off
.LBB0_70:
	.loc	1 0 16 is_stmt 0                ; attention_fwd.py:0:16
	s_or_b32 exec_lo, exec_lo, s0
	.loc	1 17 33 is_stmt 1               ; attention_fwd.py:17:33
	v_or_b32_e32 v37, 0x46, v36
	.loc	1 21 16                         ; attention_fwd.py:21:16
	s_mov_b32 s0, exec_lo
	s_delay_alu instid0(VALU_DEP_1)
	.loc	1 21 47 is_stmt 0               ; attention_fwd.py:21:47
	v_cmpx_gt_i32_e64 s100, v37
	.loc	1 21 16                         ; attention_fwd.py:21:16
	s_cbranch_execz .LBB0_72
; %bb.71:
	.loc	1 20 35 is_stmt 1               ; attention_fwd.py:20:35
	v_mul_lo_u32 v74, s6, v37
	s_delay_alu instid0(VALU_DEP_1) | instskip(NEXT) | instid1(VALU_DEP_1)
	.loc	1 20 17 is_stmt 0               ; attention_fwd.py:20:17
	v_ashrrev_i32_e32 v75, 31, v74
	v_lshlrev_b64 v[74:75], 1, v[74:75]
	s_delay_alu instid0(VALU_DEP_1) | instskip(NEXT) | instid1(VALU_DEP_1)
	v_add_co_u32 v37, vcc_lo, s4, v74
	v_add_co_ci_u32_e64 v70, null, s5, v75, vcc_lo
	s_delay_alu instid0(VALU_DEP_2) | instskip(NEXT) | instid1(VALU_DEP_1)
	.loc	1 20 47                         ; attention_fwd.py:20:47
	v_add_co_u32 v74, vcc_lo, v37, v1
	v_add_co_ci_u32_e64 v75, null, v70, v2, vcc_lo
	.loc	1 21 16 is_stmt 1               ; attention_fwd.py:21:16
	global_load_u16 v70, v[74:75], off
.LBB0_72:
	.loc	1 0 16 is_stmt 0                ; attention_fwd.py:0:16
	s_or_b32 exec_lo, exec_lo, s0
	.loc	1 17 33 is_stmt 1               ; attention_fwd.py:17:33
	v_or_b32_e32 v37, 0x48, v36
	v_dual_mov_b32 v72, 0 :: v_dual_mov_b32 v75, 0
	.loc	1 21 16                         ; attention_fwd.py:21:16
	s_mov_b32 s0, exec_lo
	s_delay_alu instid0(VALU_DEP_2)
	.loc	1 21 47 is_stmt 0               ; attention_fwd.py:21:47
	v_cmpx_gt_i32_e64 s100, v37
	.loc	1 21 16                         ; attention_fwd.py:21:16
	s_cbranch_execz .LBB0_74
; %bb.73:
	.loc	1 20 35 is_stmt 1               ; attention_fwd.py:20:35
	v_mul_lo_u32 v74, s6, v37
	s_delay_alu instid0(VALU_DEP_1) | instskip(NEXT) | instid1(VALU_DEP_1)
	.loc	1 20 17 is_stmt 0               ; attention_fwd.py:20:17
	v_ashrrev_i32_e32 v75, 31, v74
	v_lshlrev_b64 v[74:75], 1, v[74:75]
	s_delay_alu instid0(VALU_DEP_1) | instskip(NEXT) | instid1(VALU_DEP_1)
	v_add_co_u32 v37, vcc_lo, s4, v74
	v_add_co_ci_u32_e64 v75, null, s5, v75, vcc_lo
	s_delay_alu instid0(VALU_DEP_2) | instskip(NEXT) | instid1(VALU_DEP_1)
	.loc	1 20 47                         ; attention_fwd.py:20:47
	v_add_co_u32 v74, vcc_lo, v37, v1
	v_add_co_ci_u32_e64 v75, null, v75, v2, vcc_lo
	.loc	1 21 16 is_stmt 1               ; attention_fwd.py:21:16
	global_load_u16 v75, v[74:75], off
.LBB0_74:
	.loc	1 0 16 is_stmt 0                ; attention_fwd.py:0:16
	s_or_b32 exec_lo, exec_lo, s0
	.loc	1 17 33 is_stmt 1               ; attention_fwd.py:17:33
	v_or_b32_e32 v37, 0x4a, v36
	.loc	1 21 16                         ; attention_fwd.py:21:16
	s_mov_b32 s0, exec_lo
	s_delay_alu instid0(VALU_DEP_1)
	.loc	1 21 47 is_stmt 0               ; attention_fwd.py:21:47
	v_cmpx_gt_i32_e64 s100, v37
	.loc	1 21 16                         ; attention_fwd.py:21:16
	s_cbranch_execz .LBB0_76
; %bb.75:
	.loc	1 20 35 is_stmt 1               ; attention_fwd.py:20:35
	v_mul_lo_u32 v76, s6, v37
	s_delay_alu instid0(VALU_DEP_1) | instskip(NEXT) | instid1(VALU_DEP_1)
	.loc	1 20 17 is_stmt 0               ; attention_fwd.py:20:17
	v_ashrrev_i32_e32 v77, 31, v76
	v_lshlrev_b64 v[76:77], 1, v[76:77]
	s_delay_alu instid0(VALU_DEP_1) | instskip(NEXT) | instid1(VALU_DEP_1)
	v_add_co_u32 v37, vcc_lo, s4, v76
	v_add_co_ci_u32_e64 v72, null, s5, v77, vcc_lo
	s_delay_alu instid0(VALU_DEP_2) | instskip(NEXT) | instid1(VALU_DEP_1)
	.loc	1 20 47                         ; attention_fwd.py:20:47
	v_add_co_u32 v76, vcc_lo, v37, v1
	v_add_co_ci_u32_e64 v77, null, v72, v2, vcc_lo
	.loc	1 21 16 is_stmt 1               ; attention_fwd.py:21:16
	global_load_u16 v72, v[76:77], off
.LBB0_76:
	.loc	1 0 16 is_stmt 0                ; attention_fwd.py:0:16
	s_or_b32 exec_lo, exec_lo, s0
	.loc	1 17 33 is_stmt 1               ; attention_fwd.py:17:33
	v_or_b32_e32 v37, 0x4c, v36
	v_mov_b32_e32 v74, 0
	v_mov_b32_e32 v76, 0
	.loc	1 21 16                         ; attention_fwd.py:21:16
	s_mov_b32 s0, exec_lo
	s_delay_alu instid0(VALU_DEP_3)
	.loc	1 21 47 is_stmt 0               ; attention_fwd.py:21:47
	v_cmpx_gt_i32_e64 s100, v37
	.loc	1 21 16                         ; attention_fwd.py:21:16
	s_cbranch_execz .LBB0_78
; %bb.77:
	.loc	1 20 35 is_stmt 1               ; attention_fwd.py:20:35
	v_mul_lo_u32 v76, s6, v37
	s_delay_alu instid0(VALU_DEP_1) | instskip(NEXT) | instid1(VALU_DEP_1)
	.loc	1 20 17 is_stmt 0               ; attention_fwd.py:20:17
	v_ashrrev_i32_e32 v77, 31, v76
	v_lshlrev_b64 v[76:77], 1, v[76:77]
	s_delay_alu instid0(VALU_DEP_1) | instskip(NEXT) | instid1(VALU_DEP_1)
	v_add_co_u32 v37, vcc_lo, s4, v76
	v_add_co_ci_u32_e64 v77, null, s5, v77, vcc_lo
	s_delay_alu instid0(VALU_DEP_2) | instskip(NEXT) | instid1(VALU_DEP_1)
	.loc	1 20 47                         ; attention_fwd.py:20:47
	v_add_co_u32 v76, vcc_lo, v37, v1
	v_add_co_ci_u32_e64 v77, null, v77, v2, vcc_lo
	.loc	1 21 16 is_stmt 1               ; attention_fwd.py:21:16
	global_load_u16 v76, v[76:77], off
.LBB0_78:
	.loc	1 0 16 is_stmt 0                ; attention_fwd.py:0:16
	s_or_b32 exec_lo, exec_lo, s0
	.loc	1 17 33 is_stmt 1               ; attention_fwd.py:17:33
	v_or_b32_e32 v37, 0x4e, v36
	.loc	1 21 16                         ; attention_fwd.py:21:16
	s_mov_b32 s0, exec_lo
	s_delay_alu instid0(VALU_DEP_1)
	.loc	1 21 47 is_stmt 0               ; attention_fwd.py:21:47
	v_cmpx_gt_i32_e64 s100, v37
	.loc	1 21 16                         ; attention_fwd.py:21:16
	s_cbranch_execz .LBB0_80
; %bb.79:
	.loc	1 20 35 is_stmt 1               ; attention_fwd.py:20:35
	v_mul_lo_u32 v77, s6, v37
	s_delay_alu instid0(VALU_DEP_1) | instskip(NEXT) | instid1(VALU_DEP_1)
	.loc	1 20 17 is_stmt 0               ; attention_fwd.py:20:17
	v_ashrrev_i32_e32 v78, 31, v77
	v_lshlrev_b64 v[77:78], 1, v[77:78]
	s_delay_alu instid0(VALU_DEP_1) | instskip(NEXT) | instid1(VALU_DEP_1)
	v_add_co_u32 v37, vcc_lo, s4, v77
	v_add_co_ci_u32_e64 v74, null, s5, v78, vcc_lo
	s_delay_alu instid0(VALU_DEP_2) | instskip(NEXT) | instid1(VALU_DEP_1)
	.loc	1 20 47                         ; attention_fwd.py:20:47
	v_add_co_u32 v77, vcc_lo, v37, v1
	v_add_co_ci_u32_e64 v78, null, v74, v2, vcc_lo
	.loc	1 21 16 is_stmt 1               ; attention_fwd.py:21:16
	global_load_u16 v74, v[77:78], off
.LBB0_80:
	.loc	1 0 16 is_stmt 0                ; attention_fwd.py:0:16
	s_or_b32 exec_lo, exec_lo, s0
	.loc	1 17 33 is_stmt 1               ; attention_fwd.py:17:33
	v_or_b32_e32 v37, 0x50, v36
	v_mov_b32_e32 v77, 0
	v_mov_b32_e32 v79, 0
	.loc	1 21 16                         ; attention_fwd.py:21:16
	s_mov_b32 s0, exec_lo
	s_delay_alu instid0(VALU_DEP_3)
	.loc	1 21 47 is_stmt 0               ; attention_fwd.py:21:47
	v_cmpx_gt_i32_e64 s100, v37
	.loc	1 21 16                         ; attention_fwd.py:21:16
	s_cbranch_execz .LBB0_82
; %bb.81:
	.loc	1 20 35 is_stmt 1               ; attention_fwd.py:20:35
	v_mul_lo_u32 v78, s6, v37
	s_delay_alu instid0(VALU_DEP_1) | instskip(NEXT) | instid1(VALU_DEP_1)
	.loc	1 20 17 is_stmt 0               ; attention_fwd.py:20:17
	v_ashrrev_i32_e32 v79, 31, v78
	v_lshlrev_b64 v[78:79], 1, v[78:79]
	s_delay_alu instid0(VALU_DEP_1) | instskip(NEXT) | instid1(VALU_DEP_1)
	v_add_co_u32 v37, vcc_lo, s4, v78
	v_add_co_ci_u32_e64 v79, null, s5, v79, vcc_lo
	s_delay_alu instid0(VALU_DEP_2) | instskip(NEXT) | instid1(VALU_DEP_1)
	.loc	1 20 47                         ; attention_fwd.py:20:47
	v_add_co_u32 v78, vcc_lo, v37, v1
	v_add_co_ci_u32_e64 v79, null, v79, v2, vcc_lo
	.loc	1 21 16 is_stmt 1               ; attention_fwd.py:21:16
	global_load_u16 v79, v[78:79], off
.LBB0_82:
	.loc	1 0 16 is_stmt 0                ; attention_fwd.py:0:16
	s_or_b32 exec_lo, exec_lo, s0
	.loc	1 17 33 is_stmt 1               ; attention_fwd.py:17:33
	v_or_b32_e32 v37, 0x52, v36
	.loc	1 21 16                         ; attention_fwd.py:21:16
	s_mov_b32 s0, exec_lo
	s_delay_alu instid0(VALU_DEP_1)
	.loc	1 21 47 is_stmt 0               ; attention_fwd.py:21:47
	v_cmpx_gt_i32_e64 s100, v37
	.loc	1 21 16                         ; attention_fwd.py:21:16
	s_cbranch_execz .LBB0_84
; %bb.83:
	.loc	1 20 35 is_stmt 1               ; attention_fwd.py:20:35
	v_mul_lo_u32 v77, s6, v37
	s_delay_alu instid0(VALU_DEP_1) | instskip(NEXT) | instid1(VALU_DEP_1)
	.loc	1 20 17 is_stmt 0               ; attention_fwd.py:20:17
	v_ashrrev_i32_e32 v78, 31, v77
	v_lshlrev_b64 v[77:78], 1, v[77:78]
	s_delay_alu instid0(VALU_DEP_1) | instskip(NEXT) | instid1(VALU_DEP_1)
	v_add_co_u32 v37, vcc_lo, s4, v77
	v_add_co_ci_u32_e64 v78, null, s5, v78, vcc_lo
	s_delay_alu instid0(VALU_DEP_2) | instskip(NEXT) | instid1(VALU_DEP_1)
	.loc	1 20 47                         ; attention_fwd.py:20:47
	v_add_co_u32 v77, vcc_lo, v37, v1
	v_add_co_ci_u32_e64 v78, null, v78, v2, vcc_lo
	.loc	1 21 16 is_stmt 1               ; attention_fwd.py:21:16
	global_load_u16 v77, v[77:78], off
.LBB0_84:
	.loc	1 0 16 is_stmt 0                ; attention_fwd.py:0:16
	s_or_b32 exec_lo, exec_lo, s0
	.loc	1 17 33 is_stmt 1               ; attention_fwd.py:17:33
	v_or_b32_e32 v37, 0x54, v36
	v_dual_mov_b32 v78, 0 :: v_dual_mov_b32 v81, 0
	.loc	1 21 16                         ; attention_fwd.py:21:16
	s_mov_b32 s0, exec_lo
	s_delay_alu instid0(VALU_DEP_2)
	.loc	1 21 47 is_stmt 0               ; attention_fwd.py:21:47
	v_cmpx_gt_i32_e64 s100, v37
	.loc	1 21 16                         ; attention_fwd.py:21:16
	s_cbranch_execz .LBB0_86
; %bb.85:
	.loc	1 20 35 is_stmt 1               ; attention_fwd.py:20:35
	v_mul_lo_u32 v80, s6, v37
	s_delay_alu instid0(VALU_DEP_1) | instskip(NEXT) | instid1(VALU_DEP_1)
	.loc	1 20 17 is_stmt 0               ; attention_fwd.py:20:17
	v_ashrrev_i32_e32 v81, 31, v80
	v_lshlrev_b64 v[80:81], 1, v[80:81]
	s_delay_alu instid0(VALU_DEP_1) | instskip(NEXT) | instid1(VALU_DEP_1)
	v_add_co_u32 v37, vcc_lo, s4, v80
	v_add_co_ci_u32_e64 v81, null, s5, v81, vcc_lo
	s_delay_alu instid0(VALU_DEP_2) | instskip(NEXT) | instid1(VALU_DEP_1)
	.loc	1 20 47                         ; attention_fwd.py:20:47
	v_add_co_u32 v80, vcc_lo, v37, v1
	v_add_co_ci_u32_e64 v81, null, v81, v2, vcc_lo
	.loc	1 21 16 is_stmt 1               ; attention_fwd.py:21:16
	global_load_u16 v81, v[80:81], off
.LBB0_86:
	.loc	1 0 16 is_stmt 0                ; attention_fwd.py:0:16
	s_or_b32 exec_lo, exec_lo, s0
	.loc	1 17 33 is_stmt 1               ; attention_fwd.py:17:33
	v_or_b32_e32 v37, 0x56, v36
	.loc	1 21 16                         ; attention_fwd.py:21:16
	s_mov_b32 s0, exec_lo
	s_delay_alu instid0(VALU_DEP_1)
	.loc	1 21 47 is_stmt 0               ; attention_fwd.py:21:47
	v_cmpx_gt_i32_e64 s100, v37
	.loc	1 21 16                         ; attention_fwd.py:21:16
	s_cbranch_execz .LBB0_88
; %bb.87:
	.loc	1 20 35 is_stmt 1               ; attention_fwd.py:20:35
	v_mul_lo_u32 v82, s6, v37
	s_delay_alu instid0(VALU_DEP_1) | instskip(NEXT) | instid1(VALU_DEP_1)
	.loc	1 20 17 is_stmt 0               ; attention_fwd.py:20:17
	v_ashrrev_i32_e32 v83, 31, v82
	v_lshlrev_b64 v[82:83], 1, v[82:83]
	s_delay_alu instid0(VALU_DEP_1) | instskip(NEXT) | instid1(VALU_DEP_1)
	v_add_co_u32 v37, vcc_lo, s4, v82
	v_add_co_ci_u32_e64 v78, null, s5, v83, vcc_lo
	s_delay_alu instid0(VALU_DEP_2) | instskip(NEXT) | instid1(VALU_DEP_1)
	.loc	1 20 47                         ; attention_fwd.py:20:47
	v_add_co_u32 v82, vcc_lo, v37, v1
	v_add_co_ci_u32_e64 v83, null, v78, v2, vcc_lo
	.loc	1 21 16 is_stmt 1               ; attention_fwd.py:21:16
	global_load_u16 v78, v[82:83], off
.LBB0_88:
	.loc	1 0 16 is_stmt 0                ; attention_fwd.py:0:16
	s_or_b32 exec_lo, exec_lo, s0
	.loc	1 17 33 is_stmt 1               ; attention_fwd.py:17:33
	v_or_b32_e32 v37, 0x58, v36
	v_dual_mov_b32 v80, 0 :: v_dual_mov_b32 v83, 0
	.loc	1 21 16                         ; attention_fwd.py:21:16
	s_mov_b32 s0, exec_lo
	s_delay_alu instid0(VALU_DEP_2)
	.loc	1 21 47 is_stmt 0               ; attention_fwd.py:21:47
	v_cmpx_gt_i32_e64 s100, v37
	.loc	1 21 16                         ; attention_fwd.py:21:16
	s_cbranch_execz .LBB0_90
; %bb.89:
	.loc	1 20 35 is_stmt 1               ; attention_fwd.py:20:35
	v_mul_lo_u32 v82, s6, v37
	s_delay_alu instid0(VALU_DEP_1) | instskip(NEXT) | instid1(VALU_DEP_1)
	.loc	1 20 17 is_stmt 0               ; attention_fwd.py:20:17
	v_ashrrev_i32_e32 v83, 31, v82
	v_lshlrev_b64 v[82:83], 1, v[82:83]
	s_delay_alu instid0(VALU_DEP_1) | instskip(NEXT) | instid1(VALU_DEP_1)
	v_add_co_u32 v37, vcc_lo, s4, v82
	v_add_co_ci_u32_e64 v83, null, s5, v83, vcc_lo
	s_delay_alu instid0(VALU_DEP_2) | instskip(NEXT) | instid1(VALU_DEP_1)
	.loc	1 20 47                         ; attention_fwd.py:20:47
	v_add_co_u32 v82, vcc_lo, v37, v1
	v_add_co_ci_u32_e64 v83, null, v83, v2, vcc_lo
	.loc	1 21 16 is_stmt 1               ; attention_fwd.py:21:16
	global_load_u16 v83, v[82:83], off
.LBB0_90:
	.loc	1 0 16 is_stmt 0                ; attention_fwd.py:0:16
	s_or_b32 exec_lo, exec_lo, s0
	.loc	1 17 33 is_stmt 1               ; attention_fwd.py:17:33
	v_or_b32_e32 v37, 0x5a, v36
	.loc	1 21 16                         ; attention_fwd.py:21:16
	s_mov_b32 s0, exec_lo
	s_delay_alu instid0(VALU_DEP_1)
	.loc	1 21 47 is_stmt 0               ; attention_fwd.py:21:47
	v_cmpx_gt_i32_e64 s100, v37
	.loc	1 21 16                         ; attention_fwd.py:21:16
	s_cbranch_execz .LBB0_92
; %bb.91:
	.loc	1 20 35 is_stmt 1               ; attention_fwd.py:20:35
	v_mul_lo_u32 v84, s6, v37
	s_delay_alu instid0(VALU_DEP_1) | instskip(NEXT) | instid1(VALU_DEP_1)
	.loc	1 20 17 is_stmt 0               ; attention_fwd.py:20:17
	v_ashrrev_i32_e32 v85, 31, v84
	v_lshlrev_b64 v[84:85], 1, v[84:85]
	s_delay_alu instid0(VALU_DEP_1) | instskip(NEXT) | instid1(VALU_DEP_1)
	v_add_co_u32 v37, vcc_lo, s4, v84
	v_add_co_ci_u32_e64 v80, null, s5, v85, vcc_lo
	s_delay_alu instid0(VALU_DEP_2) | instskip(NEXT) | instid1(VALU_DEP_1)
	.loc	1 20 47                         ; attention_fwd.py:20:47
	v_add_co_u32 v84, vcc_lo, v37, v1
	v_add_co_ci_u32_e64 v85, null, v80, v2, vcc_lo
	.loc	1 21 16 is_stmt 1               ; attention_fwd.py:21:16
	global_load_u16 v80, v[84:85], off
.LBB0_92:
	.loc	1 0 16 is_stmt 0                ; attention_fwd.py:0:16
	s_or_b32 exec_lo, exec_lo, s0
	.loc	1 17 33 is_stmt 1               ; attention_fwd.py:17:33
	v_or_b32_e32 v37, 0x5c, v36
	v_mov_b32_e32 v82, 0
	v_mov_b32_e32 v84, 0
	.loc	1 21 16                         ; attention_fwd.py:21:16
	s_mov_b32 s0, exec_lo
	s_delay_alu instid0(VALU_DEP_3)
	.loc	1 21 47 is_stmt 0               ; attention_fwd.py:21:47
	v_cmpx_gt_i32_e64 s100, v37
	.loc	1 21 16                         ; attention_fwd.py:21:16
	s_cbranch_execz .LBB0_94
; %bb.93:
	.loc	1 20 35 is_stmt 1               ; attention_fwd.py:20:35
	v_mul_lo_u32 v84, s6, v37
	s_delay_alu instid0(VALU_DEP_1) | instskip(NEXT) | instid1(VALU_DEP_1)
	.loc	1 20 17 is_stmt 0               ; attention_fwd.py:20:17
	v_ashrrev_i32_e32 v85, 31, v84
	v_lshlrev_b64 v[84:85], 1, v[84:85]
	s_delay_alu instid0(VALU_DEP_1) | instskip(NEXT) | instid1(VALU_DEP_1)
	v_add_co_u32 v37, vcc_lo, s4, v84
	v_add_co_ci_u32_e64 v85, null, s5, v85, vcc_lo
	s_delay_alu instid0(VALU_DEP_2) | instskip(NEXT) | instid1(VALU_DEP_1)
	.loc	1 20 47                         ; attention_fwd.py:20:47
	v_add_co_u32 v84, vcc_lo, v37, v1
	v_add_co_ci_u32_e64 v85, null, v85, v2, vcc_lo
	.loc	1 21 16 is_stmt 1               ; attention_fwd.py:21:16
	global_load_u16 v84, v[84:85], off
.LBB0_94:
	.loc	1 0 16 is_stmt 0                ; attention_fwd.py:0:16
	s_or_b32 exec_lo, exec_lo, s0
	.loc	1 17 33 is_stmt 1               ; attention_fwd.py:17:33
	v_or_b32_e32 v37, 0x5e, v36
	.loc	1 21 16                         ; attention_fwd.py:21:16
	s_mov_b32 s0, exec_lo
	s_delay_alu instid0(VALU_DEP_1)
	.loc	1 21 47 is_stmt 0               ; attention_fwd.py:21:47
	v_cmpx_gt_i32_e64 s100, v37
	.loc	1 21 16                         ; attention_fwd.py:21:16
	s_cbranch_execz .LBB0_96
; %bb.95:
	.loc	1 20 35 is_stmt 1               ; attention_fwd.py:20:35
	v_mul_lo_u32 v85, s6, v37
	s_delay_alu instid0(VALU_DEP_1) | instskip(NEXT) | instid1(VALU_DEP_1)
	.loc	1 20 17 is_stmt 0               ; attention_fwd.py:20:17
	v_ashrrev_i32_e32 v86, 31, v85
	v_lshlrev_b64 v[85:86], 1, v[85:86]
	s_delay_alu instid0(VALU_DEP_1) | instskip(NEXT) | instid1(VALU_DEP_1)
	v_add_co_u32 v37, vcc_lo, s4, v85
	v_add_co_ci_u32_e64 v82, null, s5, v86, vcc_lo
	s_delay_alu instid0(VALU_DEP_2) | instskip(NEXT) | instid1(VALU_DEP_1)
	.loc	1 20 47                         ; attention_fwd.py:20:47
	v_add_co_u32 v85, vcc_lo, v37, v1
	v_add_co_ci_u32_e64 v86, null, v82, v2, vcc_lo
	.loc	1 21 16 is_stmt 1               ; attention_fwd.py:21:16
	global_load_u16 v82, v[85:86], off
.LBB0_96:
	.loc	1 0 16 is_stmt 0                ; attention_fwd.py:0:16
	s_or_b32 exec_lo, exec_lo, s0
	.loc	1 17 33 is_stmt 1               ; attention_fwd.py:17:33
	v_or_b32_e32 v37, 0x60, v36
	v_mov_b32_e32 v85, 0
	v_mov_b32_e32 v87, 0
	.loc	1 21 16                         ; attention_fwd.py:21:16
	s_mov_b32 s0, exec_lo
	s_delay_alu instid0(VALU_DEP_3)
	.loc	1 21 47 is_stmt 0               ; attention_fwd.py:21:47
	v_cmpx_gt_i32_e64 s100, v37
	.loc	1 21 16                         ; attention_fwd.py:21:16
	s_cbranch_execz .LBB0_98
; %bb.97:
	.loc	1 20 35 is_stmt 1               ; attention_fwd.py:20:35
	v_mul_lo_u32 v86, s6, v37
	s_delay_alu instid0(VALU_DEP_1) | instskip(NEXT) | instid1(VALU_DEP_1)
	.loc	1 20 17 is_stmt 0               ; attention_fwd.py:20:17
	v_ashrrev_i32_e32 v87, 31, v86
	v_lshlrev_b64 v[86:87], 1, v[86:87]
	s_delay_alu instid0(VALU_DEP_1) | instskip(NEXT) | instid1(VALU_DEP_1)
	v_add_co_u32 v37, vcc_lo, s4, v86
	v_add_co_ci_u32_e64 v87, null, s5, v87, vcc_lo
	s_delay_alu instid0(VALU_DEP_2) | instskip(NEXT) | instid1(VALU_DEP_1)
	.loc	1 20 47                         ; attention_fwd.py:20:47
	v_add_co_u32 v86, vcc_lo, v37, v1
	v_add_co_ci_u32_e64 v87, null, v87, v2, vcc_lo
	.loc	1 21 16 is_stmt 1               ; attention_fwd.py:21:16
	global_load_u16 v87, v[86:87], off
.LBB0_98:
	.loc	1 0 16 is_stmt 0                ; attention_fwd.py:0:16
	s_or_b32 exec_lo, exec_lo, s0
	.loc	1 17 33 is_stmt 1               ; attention_fwd.py:17:33
	v_or_b32_e32 v37, 0x62, v36
	.loc	1 21 16                         ; attention_fwd.py:21:16
	s_mov_b32 s0, exec_lo
	s_delay_alu instid0(VALU_DEP_1)
	.loc	1 21 47 is_stmt 0               ; attention_fwd.py:21:47
	v_cmpx_gt_i32_e64 s100, v37
	.loc	1 21 16                         ; attention_fwd.py:21:16
	s_cbranch_execz .LBB0_100
; %bb.99:
	.loc	1 20 35 is_stmt 1               ; attention_fwd.py:20:35
	v_mul_lo_u32 v85, s6, v37
	s_delay_alu instid0(VALU_DEP_1) | instskip(NEXT) | instid1(VALU_DEP_1)
	.loc	1 20 17 is_stmt 0               ; attention_fwd.py:20:17
	v_ashrrev_i32_e32 v86, 31, v85
	v_lshlrev_b64 v[85:86], 1, v[85:86]
	s_delay_alu instid0(VALU_DEP_1) | instskip(NEXT) | instid1(VALU_DEP_1)
	v_add_co_u32 v37, vcc_lo, s4, v85
	v_add_co_ci_u32_e64 v86, null, s5, v86, vcc_lo
	s_delay_alu instid0(VALU_DEP_2) | instskip(NEXT) | instid1(VALU_DEP_1)
	.loc	1 20 47                         ; attention_fwd.py:20:47
	v_add_co_u32 v85, vcc_lo, v37, v1
	v_add_co_ci_u32_e64 v86, null, v86, v2, vcc_lo
	.loc	1 21 16 is_stmt 1               ; attention_fwd.py:21:16
	global_load_u16 v85, v[85:86], off
.LBB0_100:
	.loc	1 0 16 is_stmt 0                ; attention_fwd.py:0:16
	s_or_b32 exec_lo, exec_lo, s0
	.loc	1 17 33 is_stmt 1               ; attention_fwd.py:17:33
	v_or_b32_e32 v37, 0x64, v36
	v_dual_mov_b32 v86, 0 :: v_dual_mov_b32 v89, 0
	.loc	1 21 16                         ; attention_fwd.py:21:16
	s_mov_b32 s0, exec_lo
	s_delay_alu instid0(VALU_DEP_2)
	.loc	1 21 47 is_stmt 0               ; attention_fwd.py:21:47
	v_cmpx_gt_i32_e64 s100, v37
	.loc	1 21 16                         ; attention_fwd.py:21:16
	s_cbranch_execz .LBB0_102
; %bb.101:
	.loc	1 20 35 is_stmt 1               ; attention_fwd.py:20:35
	v_mul_lo_u32 v88, s6, v37
	s_delay_alu instid0(VALU_DEP_1) | instskip(NEXT) | instid1(VALU_DEP_1)
	.loc	1 20 17 is_stmt 0               ; attention_fwd.py:20:17
	v_ashrrev_i32_e32 v89, 31, v88
	v_lshlrev_b64 v[88:89], 1, v[88:89]
	s_delay_alu instid0(VALU_DEP_1) | instskip(NEXT) | instid1(VALU_DEP_1)
	v_add_co_u32 v37, vcc_lo, s4, v88
	v_add_co_ci_u32_e64 v89, null, s5, v89, vcc_lo
	s_delay_alu instid0(VALU_DEP_2) | instskip(NEXT) | instid1(VALU_DEP_1)
	.loc	1 20 47                         ; attention_fwd.py:20:47
	v_add_co_u32 v88, vcc_lo, v37, v1
	v_add_co_ci_u32_e64 v89, null, v89, v2, vcc_lo
	.loc	1 21 16 is_stmt 1               ; attention_fwd.py:21:16
	global_load_u16 v89, v[88:89], off
.LBB0_102:
	.loc	1 0 16 is_stmt 0                ; attention_fwd.py:0:16
	s_or_b32 exec_lo, exec_lo, s0
	.loc	1 17 33 is_stmt 1               ; attention_fwd.py:17:33
	v_or_b32_e32 v37, 0x66, v36
	.loc	1 21 16                         ; attention_fwd.py:21:16
	s_mov_b32 s0, exec_lo
	s_delay_alu instid0(VALU_DEP_1)
	.loc	1 21 47 is_stmt 0               ; attention_fwd.py:21:47
	v_cmpx_gt_i32_e64 s100, v37
	.loc	1 21 16                         ; attention_fwd.py:21:16
	s_cbranch_execz .LBB0_104
; %bb.103:
	.loc	1 20 35 is_stmt 1               ; attention_fwd.py:20:35
	v_mul_lo_u32 v90, s6, v37
	s_delay_alu instid0(VALU_DEP_1) | instskip(NEXT) | instid1(VALU_DEP_1)
	.loc	1 20 17 is_stmt 0               ; attention_fwd.py:20:17
	v_ashrrev_i32_e32 v91, 31, v90
	v_lshlrev_b64 v[90:91], 1, v[90:91]
	s_delay_alu instid0(VALU_DEP_1) | instskip(NEXT) | instid1(VALU_DEP_1)
	v_add_co_u32 v37, vcc_lo, s4, v90
	v_add_co_ci_u32_e64 v86, null, s5, v91, vcc_lo
	s_delay_alu instid0(VALU_DEP_2) | instskip(NEXT) | instid1(VALU_DEP_1)
	.loc	1 20 47                         ; attention_fwd.py:20:47
	v_add_co_u32 v90, vcc_lo, v37, v1
	v_add_co_ci_u32_e64 v91, null, v86, v2, vcc_lo
	.loc	1 21 16 is_stmt 1               ; attention_fwd.py:21:16
	global_load_u16 v86, v[90:91], off
.LBB0_104:
	.loc	1 0 16 is_stmt 0                ; attention_fwd.py:0:16
	s_or_b32 exec_lo, exec_lo, s0
	.loc	1 17 33 is_stmt 1               ; attention_fwd.py:17:33
	v_or_b32_e32 v37, 0x68, v36
	v_dual_mov_b32 v88, 0 :: v_dual_mov_b32 v91, 0
	.loc	1 21 16                         ; attention_fwd.py:21:16
	s_mov_b32 s0, exec_lo
	s_delay_alu instid0(VALU_DEP_2)
	.loc	1 21 47 is_stmt 0               ; attention_fwd.py:21:47
	v_cmpx_gt_i32_e64 s100, v37
	.loc	1 21 16                         ; attention_fwd.py:21:16
	s_cbranch_execz .LBB0_106
; %bb.105:
	.loc	1 20 35 is_stmt 1               ; attention_fwd.py:20:35
	v_mul_lo_u32 v90, s6, v37
	s_delay_alu instid0(VALU_DEP_1) | instskip(NEXT) | instid1(VALU_DEP_1)
	.loc	1 20 17 is_stmt 0               ; attention_fwd.py:20:17
	v_ashrrev_i32_e32 v91, 31, v90
	v_lshlrev_b64 v[90:91], 1, v[90:91]
	s_delay_alu instid0(VALU_DEP_1) | instskip(NEXT) | instid1(VALU_DEP_1)
	v_add_co_u32 v37, vcc_lo, s4, v90
	v_add_co_ci_u32_e64 v91, null, s5, v91, vcc_lo
	s_delay_alu instid0(VALU_DEP_2) | instskip(NEXT) | instid1(VALU_DEP_1)
	.loc	1 20 47                         ; attention_fwd.py:20:47
	v_add_co_u32 v90, vcc_lo, v37, v1
	v_add_co_ci_u32_e64 v91, null, v91, v2, vcc_lo
	.loc	1 21 16 is_stmt 1               ; attention_fwd.py:21:16
	global_load_u16 v91, v[90:91], off
.LBB0_106:
	.loc	1 0 16 is_stmt 0                ; attention_fwd.py:0:16
	s_or_b32 exec_lo, exec_lo, s0
	.loc	1 17 33 is_stmt 1               ; attention_fwd.py:17:33
	v_or_b32_e32 v37, 0x6a, v36
	.loc	1 21 16                         ; attention_fwd.py:21:16
	s_mov_b32 s0, exec_lo
	s_delay_alu instid0(VALU_DEP_1)
	.loc	1 21 47 is_stmt 0               ; attention_fwd.py:21:47
	v_cmpx_gt_i32_e64 s100, v37
	.loc	1 21 16                         ; attention_fwd.py:21:16
	s_cbranch_execz .LBB0_108
; %bb.107:
	.loc	1 20 35 is_stmt 1               ; attention_fwd.py:20:35
	v_mul_lo_u32 v92, s6, v37
	s_delay_alu instid0(VALU_DEP_1) | instskip(NEXT) | instid1(VALU_DEP_1)
	.loc	1 20 17 is_stmt 0               ; attention_fwd.py:20:17
	v_ashrrev_i32_e32 v93, 31, v92
	v_lshlrev_b64 v[92:93], 1, v[92:93]
	s_delay_alu instid0(VALU_DEP_1) | instskip(NEXT) | instid1(VALU_DEP_1)
	v_add_co_u32 v37, vcc_lo, s4, v92
	v_add_co_ci_u32_e64 v88, null, s5, v93, vcc_lo
	s_delay_alu instid0(VALU_DEP_2) | instskip(NEXT) | instid1(VALU_DEP_1)
	.loc	1 20 47                         ; attention_fwd.py:20:47
	v_add_co_u32 v92, vcc_lo, v37, v1
	v_add_co_ci_u32_e64 v93, null, v88, v2, vcc_lo
	.loc	1 21 16 is_stmt 1               ; attention_fwd.py:21:16
	global_load_u16 v88, v[92:93], off
.LBB0_108:
	.loc	1 0 16 is_stmt 0                ; attention_fwd.py:0:16
	s_or_b32 exec_lo, exec_lo, s0
	.loc	1 17 33 is_stmt 1               ; attention_fwd.py:17:33
	v_or_b32_e32 v37, 0x6c, v36
	v_mov_b32_e32 v90, 0
	v_mov_b32_e32 v92, 0
	.loc	1 21 16                         ; attention_fwd.py:21:16
	s_mov_b32 s0, exec_lo
	s_delay_alu instid0(VALU_DEP_3)
	.loc	1 21 47 is_stmt 0               ; attention_fwd.py:21:47
	v_cmpx_gt_i32_e64 s100, v37
	.loc	1 21 16                         ; attention_fwd.py:21:16
	s_cbranch_execz .LBB0_110
; %bb.109:
	.loc	1 20 35 is_stmt 1               ; attention_fwd.py:20:35
	v_mul_lo_u32 v92, s6, v37
	s_delay_alu instid0(VALU_DEP_1) | instskip(NEXT) | instid1(VALU_DEP_1)
	.loc	1 20 17 is_stmt 0               ; attention_fwd.py:20:17
	v_ashrrev_i32_e32 v93, 31, v92
	v_lshlrev_b64 v[92:93], 1, v[92:93]
	s_delay_alu instid0(VALU_DEP_1) | instskip(NEXT) | instid1(VALU_DEP_1)
	v_add_co_u32 v37, vcc_lo, s4, v92
	v_add_co_ci_u32_e64 v93, null, s5, v93, vcc_lo
	s_delay_alu instid0(VALU_DEP_2) | instskip(NEXT) | instid1(VALU_DEP_1)
	.loc	1 20 47                         ; attention_fwd.py:20:47
	v_add_co_u32 v92, vcc_lo, v37, v1
	v_add_co_ci_u32_e64 v93, null, v93, v2, vcc_lo
	.loc	1 21 16 is_stmt 1               ; attention_fwd.py:21:16
	global_load_u16 v92, v[92:93], off
.LBB0_110:
	.loc	1 0 16 is_stmt 0                ; attention_fwd.py:0:16
	s_or_b32 exec_lo, exec_lo, s0
	.loc	1 17 33 is_stmt 1               ; attention_fwd.py:17:33
	v_or_b32_e32 v37, 0x6e, v36
	.loc	1 21 16                         ; attention_fwd.py:21:16
	s_mov_b32 s0, exec_lo
	s_delay_alu instid0(VALU_DEP_1)
	.loc	1 21 47 is_stmt 0               ; attention_fwd.py:21:47
	v_cmpx_gt_i32_e64 s100, v37
	.loc	1 21 16                         ; attention_fwd.py:21:16
	s_cbranch_execz .LBB0_112
; %bb.111:
	.loc	1 20 35 is_stmt 1               ; attention_fwd.py:20:35
	v_mul_lo_u32 v93, s6, v37
	s_delay_alu instid0(VALU_DEP_1) | instskip(NEXT) | instid1(VALU_DEP_1)
	.loc	1 20 17 is_stmt 0               ; attention_fwd.py:20:17
	v_ashrrev_i32_e32 v94, 31, v93
	v_lshlrev_b64 v[93:94], 1, v[93:94]
	s_delay_alu instid0(VALU_DEP_1) | instskip(NEXT) | instid1(VALU_DEP_1)
	v_add_co_u32 v37, vcc_lo, s4, v93
	v_add_co_ci_u32_e64 v90, null, s5, v94, vcc_lo
	s_delay_alu instid0(VALU_DEP_2) | instskip(NEXT) | instid1(VALU_DEP_1)
	.loc	1 20 47                         ; attention_fwd.py:20:47
	v_add_co_u32 v93, vcc_lo, v37, v1
	v_add_co_ci_u32_e64 v94, null, v90, v2, vcc_lo
	.loc	1 21 16 is_stmt 1               ; attention_fwd.py:21:16
	global_load_u16 v90, v[93:94], off
.LBB0_112:
	.loc	1 0 16 is_stmt 0                ; attention_fwd.py:0:16
	s_or_b32 exec_lo, exec_lo, s0
	.loc	1 17 33 is_stmt 1               ; attention_fwd.py:17:33
	v_or_b32_e32 v37, 0x70, v36
	v_mov_b32_e32 v93, 0
	v_mov_b32_e32 v95, 0
	.loc	1 21 16                         ; attention_fwd.py:21:16
	s_mov_b32 s0, exec_lo
	s_delay_alu instid0(VALU_DEP_3)
	.loc	1 21 47 is_stmt 0               ; attention_fwd.py:21:47
	v_cmpx_gt_i32_e64 s100, v37
	.loc	1 21 16                         ; attention_fwd.py:21:16
	s_cbranch_execz .LBB0_114
; %bb.113:
	.loc	1 20 35 is_stmt 1               ; attention_fwd.py:20:35
	v_mul_lo_u32 v94, s6, v37
	s_delay_alu instid0(VALU_DEP_1) | instskip(NEXT) | instid1(VALU_DEP_1)
	.loc	1 20 17 is_stmt 0               ; attention_fwd.py:20:17
	v_ashrrev_i32_e32 v95, 31, v94
	v_lshlrev_b64 v[94:95], 1, v[94:95]
	s_delay_alu instid0(VALU_DEP_1) | instskip(NEXT) | instid1(VALU_DEP_1)
	v_add_co_u32 v37, vcc_lo, s4, v94
	v_add_co_ci_u32_e64 v95, null, s5, v95, vcc_lo
	s_delay_alu instid0(VALU_DEP_2) | instskip(NEXT) | instid1(VALU_DEP_1)
	.loc	1 20 47                         ; attention_fwd.py:20:47
	v_add_co_u32 v94, vcc_lo, v37, v1
	v_add_co_ci_u32_e64 v95, null, v95, v2, vcc_lo
	.loc	1 21 16 is_stmt 1               ; attention_fwd.py:21:16
	global_load_u16 v95, v[94:95], off
.LBB0_114:
	.loc	1 0 16 is_stmt 0                ; attention_fwd.py:0:16
	s_or_b32 exec_lo, exec_lo, s0
	.loc	1 17 33 is_stmt 1               ; attention_fwd.py:17:33
	v_or_b32_e32 v37, 0x72, v36
	.loc	1 21 16                         ; attention_fwd.py:21:16
	s_mov_b32 s0, exec_lo
	s_delay_alu instid0(VALU_DEP_1)
	.loc	1 21 47 is_stmt 0               ; attention_fwd.py:21:47
	v_cmpx_gt_i32_e64 s100, v37
	.loc	1 21 16                         ; attention_fwd.py:21:16
	s_cbranch_execz .LBB0_116
; %bb.115:
	.loc	1 20 35 is_stmt 1               ; attention_fwd.py:20:35
	v_mul_lo_u32 v93, s6, v37
	s_delay_alu instid0(VALU_DEP_1) | instskip(NEXT) | instid1(VALU_DEP_1)
	.loc	1 20 17 is_stmt 0               ; attention_fwd.py:20:17
	v_ashrrev_i32_e32 v94, 31, v93
	v_lshlrev_b64 v[93:94], 1, v[93:94]
	s_delay_alu instid0(VALU_DEP_1) | instskip(NEXT) | instid1(VALU_DEP_1)
	v_add_co_u32 v37, vcc_lo, s4, v93
	v_add_co_ci_u32_e64 v94, null, s5, v94, vcc_lo
	s_delay_alu instid0(VALU_DEP_2) | instskip(NEXT) | instid1(VALU_DEP_1)
	.loc	1 20 47                         ; attention_fwd.py:20:47
	v_add_co_u32 v93, vcc_lo, v37, v1
	v_add_co_ci_u32_e64 v94, null, v94, v2, vcc_lo
	.loc	1 21 16 is_stmt 1               ; attention_fwd.py:21:16
	global_load_u16 v93, v[93:94], off
.LBB0_116:
	.loc	1 0 16 is_stmt 0                ; attention_fwd.py:0:16
	s_or_b32 exec_lo, exec_lo, s0
	.loc	1 17 33 is_stmt 1               ; attention_fwd.py:17:33
	v_or_b32_e32 v37, 0x74, v36
	v_dual_mov_b32 v94, 0 :: v_dual_mov_b32 v97, 0
	.loc	1 21 16                         ; attention_fwd.py:21:16
	s_mov_b32 s0, exec_lo
	s_delay_alu instid0(VALU_DEP_2)
	.loc	1 21 47 is_stmt 0               ; attention_fwd.py:21:47
	v_cmpx_gt_i32_e64 s100, v37
	.loc	1 21 16                         ; attention_fwd.py:21:16
	s_cbranch_execz .LBB0_118
; %bb.117:
	.loc	1 20 35 is_stmt 1               ; attention_fwd.py:20:35
	v_mul_lo_u32 v96, s6, v37
	s_delay_alu instid0(VALU_DEP_1) | instskip(NEXT) | instid1(VALU_DEP_1)
	.loc	1 20 17 is_stmt 0               ; attention_fwd.py:20:17
	v_ashrrev_i32_e32 v97, 31, v96
	v_lshlrev_b64 v[96:97], 1, v[96:97]
	s_delay_alu instid0(VALU_DEP_1) | instskip(NEXT) | instid1(VALU_DEP_1)
	v_add_co_u32 v37, vcc_lo, s4, v96
	v_add_co_ci_u32_e64 v97, null, s5, v97, vcc_lo
	s_delay_alu instid0(VALU_DEP_2) | instskip(NEXT) | instid1(VALU_DEP_1)
	.loc	1 20 47                         ; attention_fwd.py:20:47
	v_add_co_u32 v96, vcc_lo, v37, v1
	v_add_co_ci_u32_e64 v97, null, v97, v2, vcc_lo
	.loc	1 21 16 is_stmt 1               ; attention_fwd.py:21:16
	global_load_u16 v97, v[96:97], off
.LBB0_118:
	.loc	1 0 16 is_stmt 0                ; attention_fwd.py:0:16
	s_or_b32 exec_lo, exec_lo, s0
	.loc	1 17 33 is_stmt 1               ; attention_fwd.py:17:33
	v_or_b32_e32 v37, 0x76, v36
	.loc	1 21 16                         ; attention_fwd.py:21:16
	s_mov_b32 s0, exec_lo
	s_delay_alu instid0(VALU_DEP_1)
	.loc	1 21 47 is_stmt 0               ; attention_fwd.py:21:47
	v_cmpx_gt_i32_e64 s100, v37
	.loc	1 21 16                         ; attention_fwd.py:21:16
	s_cbranch_execz .LBB0_120
; %bb.119:
	.loc	1 20 35 is_stmt 1               ; attention_fwd.py:20:35
	v_mul_lo_u32 v98, s6, v37
	s_delay_alu instid0(VALU_DEP_1) | instskip(NEXT) | instid1(VALU_DEP_1)
	.loc	1 20 17 is_stmt 0               ; attention_fwd.py:20:17
	v_ashrrev_i32_e32 v99, 31, v98
	v_lshlrev_b64 v[98:99], 1, v[98:99]
	s_delay_alu instid0(VALU_DEP_1) | instskip(NEXT) | instid1(VALU_DEP_1)
	v_add_co_u32 v37, vcc_lo, s4, v98
	v_add_co_ci_u32_e64 v94, null, s5, v99, vcc_lo
	s_delay_alu instid0(VALU_DEP_2) | instskip(NEXT) | instid1(VALU_DEP_1)
	.loc	1 20 47                         ; attention_fwd.py:20:47
	v_add_co_u32 v98, vcc_lo, v37, v1
	v_add_co_ci_u32_e64 v99, null, v94, v2, vcc_lo
	.loc	1 21 16 is_stmt 1               ; attention_fwd.py:21:16
	global_load_u16 v94, v[98:99], off
.LBB0_120:
	.loc	1 0 16 is_stmt 0                ; attention_fwd.py:0:16
	s_or_b32 exec_lo, exec_lo, s0
	.loc	1 17 33 is_stmt 1               ; attention_fwd.py:17:33
	v_or_b32_e32 v37, 0x78, v36
	v_dual_mov_b32 v96, 0 :: v_dual_mov_b32 v99, 0
	.loc	1 21 16                         ; attention_fwd.py:21:16
	s_mov_b32 s0, exec_lo
	s_delay_alu instid0(VALU_DEP_2)
	.loc	1 21 47 is_stmt 0               ; attention_fwd.py:21:47
	v_cmpx_gt_i32_e64 s100, v37
	.loc	1 21 16                         ; attention_fwd.py:21:16
	s_cbranch_execz .LBB0_122
; %bb.121:
	.loc	1 20 35 is_stmt 1               ; attention_fwd.py:20:35
	v_mul_lo_u32 v98, s6, v37
	s_delay_alu instid0(VALU_DEP_1) | instskip(NEXT) | instid1(VALU_DEP_1)
	.loc	1 20 17 is_stmt 0               ; attention_fwd.py:20:17
	v_ashrrev_i32_e32 v99, 31, v98
	v_lshlrev_b64 v[98:99], 1, v[98:99]
	s_delay_alu instid0(VALU_DEP_1) | instskip(NEXT) | instid1(VALU_DEP_1)
	v_add_co_u32 v37, vcc_lo, s4, v98
	v_add_co_ci_u32_e64 v99, null, s5, v99, vcc_lo
	s_delay_alu instid0(VALU_DEP_2) | instskip(NEXT) | instid1(VALU_DEP_1)
	.loc	1 20 47                         ; attention_fwd.py:20:47
	v_add_co_u32 v98, vcc_lo, v37, v1
	v_add_co_ci_u32_e64 v99, null, v99, v2, vcc_lo
	.loc	1 21 16 is_stmt 1               ; attention_fwd.py:21:16
	global_load_u16 v99, v[98:99], off
.LBB0_122:
	.loc	1 0 16 is_stmt 0                ; attention_fwd.py:0:16
	s_or_b32 exec_lo, exec_lo, s0
	.loc	1 17 33 is_stmt 1               ; attention_fwd.py:17:33
	v_or_b32_e32 v37, 0x7a, v36
	.loc	1 21 16                         ; attention_fwd.py:21:16
	s_mov_b32 s0, exec_lo
	s_delay_alu instid0(VALU_DEP_1)
	.loc	1 21 47 is_stmt 0               ; attention_fwd.py:21:47
	v_cmpx_gt_i32_e64 s100, v37
	.loc	1 21 16                         ; attention_fwd.py:21:16
	s_cbranch_execz .LBB0_124
; %bb.123:
	.loc	1 20 35 is_stmt 1               ; attention_fwd.py:20:35
	v_mul_lo_u32 v100, s6, v37
	s_delay_alu instid0(VALU_DEP_1) | instskip(NEXT) | instid1(VALU_DEP_1)
	.loc	1 20 17 is_stmt 0               ; attention_fwd.py:20:17
	v_ashrrev_i32_e32 v101, 31, v100
	v_lshlrev_b64 v[100:101], 1, v[100:101]
	s_delay_alu instid0(VALU_DEP_1) | instskip(NEXT) | instid1(VALU_DEP_1)
	v_add_co_u32 v37, vcc_lo, s4, v100
	v_add_co_ci_u32_e64 v96, null, s5, v101, vcc_lo
	s_delay_alu instid0(VALU_DEP_2) | instskip(NEXT) | instid1(VALU_DEP_1)
	.loc	1 20 47                         ; attention_fwd.py:20:47
	v_add_co_u32 v100, vcc_lo, v37, v1
	v_add_co_ci_u32_e64 v101, null, v96, v2, vcc_lo
	.loc	1 21 16 is_stmt 1               ; attention_fwd.py:21:16
	global_load_u16 v96, v[100:101], off
.LBB0_124:
	.loc	1 0 16 is_stmt 0                ; attention_fwd.py:0:16
	s_or_b32 exec_lo, exec_lo, s0
	.loc	1 17 33 is_stmt 1               ; attention_fwd.py:17:33
	v_or_b32_e32 v37, 0x7c, v36
	v_mov_b32_e32 v98, 0
	v_mov_b32_e32 v100, 0
	.loc	1 21 16                         ; attention_fwd.py:21:16
	s_mov_b32 s0, exec_lo
	s_delay_alu instid0(VALU_DEP_3)
	.loc	1 21 47 is_stmt 0               ; attention_fwd.py:21:47
	v_cmpx_gt_i32_e64 s100, v37
	.loc	1 21 16                         ; attention_fwd.py:21:16
	s_cbranch_execz .LBB0_126
; %bb.125:
	.loc	1 20 35 is_stmt 1               ; attention_fwd.py:20:35
	v_mul_lo_u32 v100, s6, v37
	s_delay_alu instid0(VALU_DEP_1) | instskip(NEXT) | instid1(VALU_DEP_1)
	.loc	1 20 17 is_stmt 0               ; attention_fwd.py:20:17
	v_ashrrev_i32_e32 v101, 31, v100
	v_lshlrev_b64 v[100:101], 1, v[100:101]
	s_delay_alu instid0(VALU_DEP_1) | instskip(NEXT) | instid1(VALU_DEP_1)
	v_add_co_u32 v37, vcc_lo, s4, v100
	v_add_co_ci_u32_e64 v101, null, s5, v101, vcc_lo
	s_delay_alu instid0(VALU_DEP_2) | instskip(NEXT) | instid1(VALU_DEP_1)
	.loc	1 20 47                         ; attention_fwd.py:20:47
	v_add_co_u32 v100, vcc_lo, v37, v1
	v_add_co_ci_u32_e64 v101, null, v101, v2, vcc_lo
	.loc	1 21 16 is_stmt 1               ; attention_fwd.py:21:16
	global_load_u16 v100, v[100:101], off
.LBB0_126:
	.loc	1 0 16 is_stmt 0                ; attention_fwd.py:0:16
	s_or_b32 exec_lo, exec_lo, s0
	s_clause 0x1
	s_load_b64 s[2:3], s[42:43], 0x8
	s_load_b32 s0, s[42:43], 0x30
	.loc	1 17 33 is_stmt 1               ; attention_fwd.py:17:33
	v_or_b32_e32 v37, 0x7e, v36
	v_and_b32_e32 v36, 0x80, v0
	.loc	1 21 16                         ; attention_fwd.py:21:16
	s_mov_b32 s1, exec_lo
	s_delay_alu instid0(VALU_DEP_2)
	.loc	1 21 47 is_stmt 0               ; attention_fwd.py:21:47
	v_cmpx_gt_i32_e64 s100, v37
	.loc	1 21 16                         ; attention_fwd.py:21:16
	s_cbranch_execz .LBB0_128
; %bb.127:
	.loc	1 20 35 is_stmt 1               ; attention_fwd.py:20:35
	v_mul_lo_u32 v101, s6, v37
	s_delay_alu instid0(VALU_DEP_1) | instskip(NEXT) | instid1(VALU_DEP_1)
	.loc	1 20 17 is_stmt 0               ; attention_fwd.py:20:17
	v_ashrrev_i32_e32 v102, 31, v101
	v_lshlrev_b64 v[101:102], 1, v[101:102]
	s_delay_alu instid0(VALU_DEP_1) | instskip(NEXT) | instid1(VALU_DEP_1)
	v_add_co_u32 v37, vcc_lo, s4, v101
	v_add_co_ci_u32_e64 v98, null, s5, v102, vcc_lo
	s_delay_alu instid0(VALU_DEP_2) | instskip(NEXT) | instid1(VALU_DEP_1)
	.loc	1 20 47                         ; attention_fwd.py:20:47
	v_add_co_u32 v1, vcc_lo, v37, v1
	v_add_co_ci_u32_e64 v2, null, v98, v2, vcc_lo
	.loc	1 21 16 is_stmt 1               ; attention_fwd.py:21:16
	global_load_u16 v98, v[1:2], off
.LBB0_128:
	.loc	1 0 16 is_stmt 0                ; attention_fwd.py:0:16
	s_or_b32 exec_lo, exec_lo, s1
	.loc	1 17 46 is_stmt 1               ; attention_fwd.py:17:46
	v_cmp_eq_u32_e32 vcc_lo, 0, v36
	v_dual_mov_b32 v128, 0 :: v_dual_lshlrev_b32 v1, 1, v3
	v_dual_mov_b32 v129, 0 :: v_dual_and_b32 v36, 15, v0
	.loc	1 21 16                         ; attention_fwd.py:21:16
	v_cndmask_b32_e64 v2, 0x110, 0, vcc_lo
	.loc	1 17 46                         ; attention_fwd.py:17:46
	v_and_b32_e32 v37, 0xe0, v0
	s_load_b32 s1, s[42:43], 0x2c
	.loc	1 34 51                         ; attention_fwd.py:34:51
	v_cmp_gt_i32_e32 vcc_lo, s100, v136
	.loc	1 31 32                         ; attention_fwd.py:31:32
	s_cmp_lt_u32 s41, 0x7fffff80
	.loc	1 21 16                         ; attention_fwd.py:21:16
	v_xor_b32_e32 v1, v2, v1
	.loc	1 31 32                         ; attention_fwd.py:31:32
	s_cselect_b32 s6, -1, 0
	s_delay_alu instid0(VALU_DEP_1)
	v_xor_b32_e32 v2, 32, v1
	v_xor_b32_e32 v101, 64, v1
	.loc	1 21 16                         ; attention_fwd.py:21:16
	v_add_nc_u32_e32 v137, 0, v1
	s_waitcnt vmcnt(0)
	ds_store_b16 v137, v39
	ds_store_b16 v137, v47 offset:4096
	ds_store_b16 v137, v55 offset:8192
	;; [unrolled: 1-line block ×7, first 2 shown]
	v_add_nc_u32_e32 v138, 0, v2
	v_xor_b32_e32 v2, 0x60, v1
	v_add_nc_u32_e32 v139, 0, v101
	ds_store_b16 v138, v4 offset:512
	ds_store_b16 v138, v45 offset:4608
	;; [unrolled: 1-line block ×8, first 2 shown]
	v_add_nc_u32_e32 v140, 0, v2
	v_xor_b32_e32 v2, 0x80, v1
	ds_store_b16 v139, v41 offset:1024
	ds_store_b16 v139, v49 offset:5120
	;; [unrolled: 1-line block ×16, first 2 shown]
	v_add_nc_u32_e32 v141, 0, v2
	v_xor_b32_e32 v2, 0xa0, v1
	v_lshlrev_b32_e32 v38, 8, v36
	v_lshlrev_b32_e32 v39, 4, v36
	ds_store_b16 v141, v43 offset:2048
	ds_store_b16 v141, v51 offset:6144
	;; [unrolled: 1-line block ×8, first 2 shown]
	v_add_nc_u32_e32 v142, 0, v2
	v_xor_b32_e32 v2, 0xc0, v1
	v_xor_b32_e32 v1, 0xe0, v1
	ds_store_b16 v142, v40 offset:2560
	ds_store_b16 v142, v48 offset:6656
	;; [unrolled: 1-line block ×8, first 2 shown]
	v_add_nc_u32_e32 v166, 0, v2
	v_add_nc_u32_e32 v165, 0, v1
	v_lshlrev_b32_e32 v1, 7, v37
	ds_store_b16 v166, v44 offset:3072
	ds_store_b16 v166, v52 offset:7168
	ds_store_b16 v166, v60 offset:11264
	ds_store_b16 v166, v68 offset:15360
	ds_store_b16 v166, v76 offset:19456
	ds_store_b16 v166, v84 offset:23552
	ds_store_b16 v166, v92 offset:27648
	ds_store_b16 v166, v100 offset:31744
	ds_store_b16 v165, v42 offset:3584
	ds_store_b16 v165, v50 offset:7680
	ds_store_b16 v165, v58 offset:11776
	ds_store_b16 v165, v66 offset:15872
	ds_store_b16 v165, v74 offset:19968
	ds_store_b16 v165, v82 offset:24064
	ds_store_b16 v165, v90 offset:28160
	ds_store_b16 v165, v98 offset:32256
	v_or3_b32 v1, v38, v1, v39
	s_waitcnt lgkmcnt(0)
	s_barrier
	buffer_gl0_inv
	v_add_nc_u32_e32 v2, 0, v1
	v_xad_u32 v4, v1, 16, 0
	v_xad_u32 v40, v1, 32, 0
	;; [unrolled: 1-line block ×3, first 2 shown]
	ds_load_b128 v[120:123], v2
	ds_load_b128 v[124:127], v4
	;; [unrolled: 1-line block ×4, first 2 shown]
	v_xad_u32 v2, v1, 64, 0
	v_xad_u32 v4, 0x50, v1, 0
	;; [unrolled: 1-line block ×6, first 2 shown]
	ds_load_b128 v[104:107], v2
	ds_load_b128 v[108:111], v4
	;; [unrolled: 1-line block ×6, first 2 shown]
	v_xad_u32 v2, 0xa0, v1, 0
	v_xad_u32 v4, 0xb0, v1, 0
	;; [unrolled: 1-line block ×6, first 2 shown]
	ds_load_b128 v[80:83], v2
	ds_load_b128 v[84:87], v4
	;; [unrolled: 1-line block ×6, first 2 shown]
	.loc	1 33 69                         ; attention_fwd.py:33:69
	v_mul_lo_u32 v1, s0, v3
	.loc	1 31 32                         ; attention_fwd.py:31:32
	s_and_b32 s0, s6, vcc_lo
	s_delay_alu instid0(VALU_DEP_1) | instskip(NEXT) | instid1(VALU_DEP_1)
	.loc	1 33 51                         ; attention_fwd.py:33:51
	v_ashrrev_i32_e32 v2, 31, v1
	v_lshlrev_b64 v[1:2], 1, v[1:2]
	.loc	1 34 20                         ; attention_fwd.py:34:20
	s_and_saveexec_b32 s4, s0
	s_cbranch_execz .LBB0_130
; %bb.129:
	.loc	1 0 20 is_stmt 0                ; attention_fwd.py:0:20
	v_mul_lo_u32 v40, s1, v136
	s_delay_alu instid0(VALU_DEP_1) | instskip(NEXT) | instid1(VALU_DEP_1)
	v_ashrrev_i32_e32 v41, 31, v40
	v_lshlrev_b64 v[40:41], 1, v[40:41]
	s_delay_alu instid0(VALU_DEP_1) | instskip(NEXT) | instid1(VALU_DEP_1)
	v_add_co_u32 v4, vcc_lo, s2, v40
	v_add_co_ci_u32_e64 v41, null, s3, v41, vcc_lo
	s_delay_alu instid0(VALU_DEP_2) | instskip(NEXT) | instid1(VALU_DEP_1)
	v_add_co_u32 v40, vcc_lo, v4, v1
	v_add_co_ci_u32_e64 v41, null, v41, v2, vcc_lo
	.loc	1 34 20                         ; attention_fwd.py:34:20
	global_load_u16 v129, v[40:41], off
.LBB0_130:
	.loc	1 0 20                          ; attention_fwd.py:0:20
	s_or_b32 exec_lo, exec_lo, s4
	.loc	1 34 51                         ; attention_fwd.py:34:51
	v_cmp_gt_i32_e32 vcc_lo, s100, v5
	.loc	1 31 32 is_stmt 1               ; attention_fwd.py:31:32
	s_and_b32 s7, s6, vcc_lo
	s_delay_alu instid0(SALU_CYCLE_1)
	.loc	1 34 20                         ; attention_fwd.py:34:20
	s_and_saveexec_b32 s4, s7
	s_cbranch_execz .LBB0_132
; %bb.131:
	.loc	1 33 39                         ; attention_fwd.py:33:39
	v_mul_lo_u32 v40, s1, v5
	s_delay_alu instid0(VALU_DEP_1) | instskip(NEXT) | instid1(VALU_DEP_1)
	.loc	1 33 21 is_stmt 0               ; attention_fwd.py:33:21
	v_ashrrev_i32_e32 v41, 31, v40
	v_lshlrev_b64 v[40:41], 1, v[40:41]
	s_delay_alu instid0(VALU_DEP_1) | instskip(NEXT) | instid1(VALU_DEP_1)
	v_add_co_u32 v4, vcc_lo, s2, v40
	v_add_co_ci_u32_e64 v41, null, s3, v41, vcc_lo
	s_delay_alu instid0(VALU_DEP_2) | instskip(NEXT) | instid1(VALU_DEP_1)
	.loc	1 33 51                         ; attention_fwd.py:33:51
	v_add_co_u32 v40, vcc_lo, v4, v1
	v_add_co_ci_u32_e64 v41, null, v41, v2, vcc_lo
	.loc	1 34 20 is_stmt 1               ; attention_fwd.py:34:20
	global_load_u16 v128, v[40:41], off
.LBB0_132:
	.loc	1 0 20 is_stmt 0                ; attention_fwd.py:0:20
	s_or_b32 exec_lo, exec_lo, s4
	.loc	1 34 51                         ; attention_fwd.py:34:51
	v_cmp_gt_i32_e32 vcc_lo, s100, v6
	v_dual_mov_b32 v130, 0 :: v_dual_mov_b32 v131, 0
	.loc	1 31 32 is_stmt 1               ; attention_fwd.py:31:32
	s_and_b32 s8, s6, vcc_lo
	s_delay_alu instid0(SALU_CYCLE_1)
	.loc	1 34 20                         ; attention_fwd.py:34:20
	s_and_saveexec_b32 s4, s8
	s_cbranch_execz .LBB0_134
; %bb.133:
	.loc	1 33 39                         ; attention_fwd.py:33:39
	v_mul_lo_u32 v40, s1, v6
	s_delay_alu instid0(VALU_DEP_1) | instskip(NEXT) | instid1(VALU_DEP_1)
	.loc	1 33 21 is_stmt 0               ; attention_fwd.py:33:21
	v_ashrrev_i32_e32 v41, 31, v40
	v_lshlrev_b64 v[40:41], 1, v[40:41]
	s_delay_alu instid0(VALU_DEP_1) | instskip(NEXT) | instid1(VALU_DEP_1)
	v_add_co_u32 v4, vcc_lo, s2, v40
	v_add_co_ci_u32_e64 v41, null, s3, v41, vcc_lo
	s_delay_alu instid0(VALU_DEP_2) | instskip(NEXT) | instid1(VALU_DEP_1)
	.loc	1 33 51                         ; attention_fwd.py:33:51
	v_add_co_u32 v40, vcc_lo, v4, v1
	v_add_co_ci_u32_e64 v41, null, v41, v2, vcc_lo
	.loc	1 34 20 is_stmt 1               ; attention_fwd.py:34:20
	global_load_u16 v131, v[40:41], off
.LBB0_134:
	.loc	1 0 20 is_stmt 0                ; attention_fwd.py:0:20
	s_or_b32 exec_lo, exec_lo, s4
	.loc	1 34 51                         ; attention_fwd.py:34:51
	v_cmp_gt_i32_e32 vcc_lo, s100, v7
	.loc	1 31 32 is_stmt 1               ; attention_fwd.py:31:32
	s_and_b32 s9, s6, vcc_lo
	s_delay_alu instid0(SALU_CYCLE_1)
	.loc	1 34 20                         ; attention_fwd.py:34:20
	s_and_saveexec_b32 s4, s9
	s_cbranch_execz .LBB0_136
; %bb.135:
	.loc	1 33 39                         ; attention_fwd.py:33:39
	v_mul_lo_u32 v40, s1, v7
	s_delay_alu instid0(VALU_DEP_1) | instskip(NEXT) | instid1(VALU_DEP_1)
	.loc	1 33 21 is_stmt 0               ; attention_fwd.py:33:21
	v_ashrrev_i32_e32 v41, 31, v40
	v_lshlrev_b64 v[40:41], 1, v[40:41]
	s_delay_alu instid0(VALU_DEP_1) | instskip(NEXT) | instid1(VALU_DEP_1)
	v_add_co_u32 v4, vcc_lo, s2, v40
	v_add_co_ci_u32_e64 v41, null, s3, v41, vcc_lo
	s_delay_alu instid0(VALU_DEP_2) | instskip(NEXT) | instid1(VALU_DEP_1)
	.loc	1 33 51                         ; attention_fwd.py:33:51
	v_add_co_u32 v40, vcc_lo, v4, v1
	v_add_co_ci_u32_e64 v41, null, v41, v2, vcc_lo
	.loc	1 34 20 is_stmt 1               ; attention_fwd.py:34:20
	global_load_u16 v130, v[40:41], off
.LBB0_136:
	.loc	1 0 20 is_stmt 0                ; attention_fwd.py:0:20
	s_or_b32 exec_lo, exec_lo, s4
	.loc	1 34 51                         ; attention_fwd.py:34:51
	v_cmp_gt_i32_e32 vcc_lo, s100, v8
	v_dual_mov_b32 v132, 0 :: v_dual_mov_b32 v133, 0
	.loc	1 31 32 is_stmt 1               ; attention_fwd.py:31:32
	s_and_b32 s10, s6, vcc_lo
	s_delay_alu instid0(SALU_CYCLE_1)
	.loc	1 34 20                         ; attention_fwd.py:34:20
	s_and_saveexec_b32 s4, s10
	s_cbranch_execz .LBB0_138
; %bb.137:
	.loc	1 33 39                         ; attention_fwd.py:33:39
	v_mul_lo_u32 v40, s1, v8
	s_delay_alu instid0(VALU_DEP_1) | instskip(NEXT) | instid1(VALU_DEP_1)
	.loc	1 33 21 is_stmt 0               ; attention_fwd.py:33:21
	v_ashrrev_i32_e32 v41, 31, v40
	v_lshlrev_b64 v[40:41], 1, v[40:41]
	s_delay_alu instid0(VALU_DEP_1) | instskip(NEXT) | instid1(VALU_DEP_1)
	v_add_co_u32 v4, vcc_lo, s2, v40
	v_add_co_ci_u32_e64 v41, null, s3, v41, vcc_lo
	s_delay_alu instid0(VALU_DEP_2) | instskip(NEXT) | instid1(VALU_DEP_1)
	.loc	1 33 51                         ; attention_fwd.py:33:51
	v_add_co_u32 v40, vcc_lo, v4, v1
	v_add_co_ci_u32_e64 v41, null, v41, v2, vcc_lo
	.loc	1 34 20 is_stmt 1               ; attention_fwd.py:34:20
	global_load_u16 v133, v[40:41], off
.LBB0_138:
	.loc	1 0 20 is_stmt 0                ; attention_fwd.py:0:20
	;; [unrolled: 55-line block ×6, first 2 shown]
	s_or_b32 exec_lo, exec_lo, s4
	.loc	1 34 51                         ; attention_fwd.py:34:51
	v_cmp_gt_i32_e32 vcc_lo, s100, v17
	.loc	1 31 32 is_stmt 1               ; attention_fwd.py:31:32
	s_and_b32 s19, s6, vcc_lo
	s_delay_alu instid0(SALU_CYCLE_1)
	.loc	1 34 20                         ; attention_fwd.py:34:20
	s_and_saveexec_b32 s4, s19
	s_cbranch_execz .LBB0_156
; %bb.155:
	.loc	1 33 39                         ; attention_fwd.py:33:39
	v_mul_lo_u32 v40, s1, v17
	s_delay_alu instid0(VALU_DEP_1) | instskip(NEXT) | instid1(VALU_DEP_1)
	.loc	1 33 21 is_stmt 0               ; attention_fwd.py:33:21
	v_ashrrev_i32_e32 v41, 31, v40
	v_lshlrev_b64 v[40:41], 1, v[40:41]
	s_delay_alu instid0(VALU_DEP_1) | instskip(NEXT) | instid1(VALU_DEP_1)
	v_add_co_u32 v4, vcc_lo, s2, v40
	v_add_co_ci_u32_e64 v41, null, s3, v41, vcc_lo
	s_delay_alu instid0(VALU_DEP_2) | instskip(NEXT) | instid1(VALU_DEP_1)
	.loc	1 33 51                         ; attention_fwd.py:33:51
	v_add_co_u32 v40, vcc_lo, v4, v1
	v_add_co_ci_u32_e64 v41, null, v41, v2, vcc_lo
	.loc	1 34 20 is_stmt 1               ; attention_fwd.py:34:20
	global_load_u16 v146, v[40:41], off
.LBB0_156:
	.loc	1 0 20 is_stmt 0                ; attention_fwd.py:0:20
	s_or_b32 exec_lo, exec_lo, s4
	.loc	1 34 51                         ; attention_fwd.py:34:51
	v_cmp_gt_i32_e32 vcc_lo, s100, v18
	v_mov_b32_e32 v162, 0
	v_mov_b32_e32 v168, 0
	.loc	1 31 32 is_stmt 1               ; attention_fwd.py:31:32
	s_and_b32 s20, s6, vcc_lo
	s_delay_alu instid0(SALU_CYCLE_1)
	.loc	1 34 20                         ; attention_fwd.py:34:20
	s_and_saveexec_b32 s4, s20
	s_cbranch_execz .LBB0_158
; %bb.157:
	.loc	1 33 39                         ; attention_fwd.py:33:39
	v_mul_lo_u32 v40, s1, v18
	s_delay_alu instid0(VALU_DEP_1) | instskip(NEXT) | instid1(VALU_DEP_1)
	.loc	1 33 21 is_stmt 0               ; attention_fwd.py:33:21
	v_ashrrev_i32_e32 v41, 31, v40
	v_lshlrev_b64 v[40:41], 1, v[40:41]
	s_delay_alu instid0(VALU_DEP_1) | instskip(NEXT) | instid1(VALU_DEP_1)
	v_add_co_u32 v4, vcc_lo, s2, v40
	v_add_co_ci_u32_e64 v41, null, s3, v41, vcc_lo
	s_delay_alu instid0(VALU_DEP_2) | instskip(NEXT) | instid1(VALU_DEP_1)
	.loc	1 33 51                         ; attention_fwd.py:33:51
	v_add_co_u32 v40, vcc_lo, v4, v1
	v_add_co_ci_u32_e64 v41, null, v41, v2, vcc_lo
	.loc	1 34 20 is_stmt 1               ; attention_fwd.py:34:20
	global_load_u16 v168, v[40:41], off
.LBB0_158:
	.loc	1 0 20 is_stmt 0                ; attention_fwd.py:0:20
	s_or_b32 exec_lo, exec_lo, s4
	.loc	1 34 51                         ; attention_fwd.py:34:51
	v_cmp_gt_i32_e32 vcc_lo, s100, v19
	.loc	1 31 32 is_stmt 1               ; attention_fwd.py:31:32
	s_and_b32 s21, s6, vcc_lo
	s_delay_alu instid0(SALU_CYCLE_1)
	.loc	1 34 20                         ; attention_fwd.py:34:20
	s_and_saveexec_b32 s4, s21
	s_cbranch_execz .LBB0_160
; %bb.159:
	.loc	1 33 39                         ; attention_fwd.py:33:39
	v_mul_lo_u32 v40, s1, v19
	s_delay_alu instid0(VALU_DEP_1) | instskip(NEXT) | instid1(VALU_DEP_1)
	.loc	1 33 21 is_stmt 0               ; attention_fwd.py:33:21
	v_ashrrev_i32_e32 v41, 31, v40
	v_lshlrev_b64 v[40:41], 1, v[40:41]
	s_delay_alu instid0(VALU_DEP_1) | instskip(NEXT) | instid1(VALU_DEP_1)
	v_add_co_u32 v4, vcc_lo, s2, v40
	v_add_co_ci_u32_e64 v41, null, s3, v41, vcc_lo
	s_delay_alu instid0(VALU_DEP_2) | instskip(NEXT) | instid1(VALU_DEP_1)
	.loc	1 33 51                         ; attention_fwd.py:33:51
	v_add_co_u32 v40, vcc_lo, v4, v1
	v_add_co_ci_u32_e64 v41, null, v41, v2, vcc_lo
	.loc	1 34 20 is_stmt 1               ; attention_fwd.py:34:20
	global_load_u16 v162, v[40:41], off
.LBB0_160:
	.loc	1 0 20 is_stmt 0                ; attention_fwd.py:0:20
	s_or_b32 exec_lo, exec_lo, s4
	.loc	1 34 51                         ; attention_fwd.py:34:51
	v_cmp_gt_i32_e32 vcc_lo, s100, v20
	v_dual_mov_b32 v148, 0 :: v_dual_mov_b32 v149, 0
	.loc	1 31 32 is_stmt 1               ; attention_fwd.py:31:32
	s_and_b32 s22, s6, vcc_lo
	s_delay_alu instid0(SALU_CYCLE_1)
	.loc	1 34 20                         ; attention_fwd.py:34:20
	s_and_saveexec_b32 s4, s22
	s_cbranch_execz .LBB0_162
; %bb.161:
	.loc	1 33 39                         ; attention_fwd.py:33:39
	v_mul_lo_u32 v40, s1, v20
	s_delay_alu instid0(VALU_DEP_1) | instskip(NEXT) | instid1(VALU_DEP_1)
	.loc	1 33 21 is_stmt 0               ; attention_fwd.py:33:21
	v_ashrrev_i32_e32 v41, 31, v40
	v_lshlrev_b64 v[40:41], 1, v[40:41]
	s_delay_alu instid0(VALU_DEP_1) | instskip(NEXT) | instid1(VALU_DEP_1)
	v_add_co_u32 v4, vcc_lo, s2, v40
	v_add_co_ci_u32_e64 v41, null, s3, v41, vcc_lo
	s_delay_alu instid0(VALU_DEP_2) | instskip(NEXT) | instid1(VALU_DEP_1)
	.loc	1 33 51                         ; attention_fwd.py:33:51
	v_add_co_u32 v40, vcc_lo, v4, v1
	v_add_co_ci_u32_e64 v41, null, v41, v2, vcc_lo
	.loc	1 34 20 is_stmt 1               ; attention_fwd.py:34:20
	global_load_u16 v149, v[40:41], off
.LBB0_162:
	.loc	1 0 20 is_stmt 0                ; attention_fwd.py:0:20
	s_or_b32 exec_lo, exec_lo, s4
	.loc	1 34 51                         ; attention_fwd.py:34:51
	v_cmp_gt_i32_e32 vcc_lo, s100, v21
	.loc	1 31 32 is_stmt 1               ; attention_fwd.py:31:32
	s_and_b32 s23, s6, vcc_lo
	s_delay_alu instid0(SALU_CYCLE_1)
	.loc	1 34 20                         ; attention_fwd.py:34:20
	s_and_saveexec_b32 s4, s23
	s_cbranch_execz .LBB0_164
; %bb.163:
	.loc	1 33 39                         ; attention_fwd.py:33:39
	v_mul_lo_u32 v40, s1, v21
	s_delay_alu instid0(VALU_DEP_1) | instskip(NEXT) | instid1(VALU_DEP_1)
	.loc	1 33 21 is_stmt 0               ; attention_fwd.py:33:21
	v_ashrrev_i32_e32 v41, 31, v40
	v_lshlrev_b64 v[40:41], 1, v[40:41]
	s_delay_alu instid0(VALU_DEP_1) | instskip(NEXT) | instid1(VALU_DEP_1)
	v_add_co_u32 v4, vcc_lo, s2, v40
	v_add_co_ci_u32_e64 v41, null, s3, v41, vcc_lo
	s_delay_alu instid0(VALU_DEP_2) | instskip(NEXT) | instid1(VALU_DEP_1)
	.loc	1 33 51                         ; attention_fwd.py:33:51
	v_add_co_u32 v40, vcc_lo, v4, v1
	v_add_co_ci_u32_e64 v41, null, v41, v2, vcc_lo
	.loc	1 34 20 is_stmt 1               ; attention_fwd.py:34:20
	global_load_u16 v148, v[40:41], off
.LBB0_164:
	.loc	1 0 20 is_stmt 0                ; attention_fwd.py:0:20
	s_or_b32 exec_lo, exec_lo, s4
	.loc	1 34 51                         ; attention_fwd.py:34:51
	v_cmp_gt_i32_e32 vcc_lo, s100, v22
	v_dual_mov_b32 v150, 0 :: v_dual_mov_b32 v151, 0
	;; [unrolled: 55-line block ×7, first 2 shown]
	.loc	1 31 32 is_stmt 1               ; attention_fwd.py:31:32
	s_and_b32 s35, s6, vcc_lo
	s_delay_alu instid0(SALU_CYCLE_1)
	.loc	1 34 20                         ; attention_fwd.py:34:20
	s_and_saveexec_b32 s4, s35
	s_cbranch_execz .LBB0_186
; %bb.185:
	.loc	1 33 39                         ; attention_fwd.py:33:39
	v_mul_lo_u32 v40, s1, v32
	s_delay_alu instid0(VALU_DEP_1) | instskip(NEXT) | instid1(VALU_DEP_1)
	.loc	1 33 21 is_stmt 0               ; attention_fwd.py:33:21
	v_ashrrev_i32_e32 v41, 31, v40
	v_lshlrev_b64 v[40:41], 1, v[40:41]
	s_delay_alu instid0(VALU_DEP_1) | instskip(NEXT) | instid1(VALU_DEP_1)
	v_add_co_u32 v4, vcc_lo, s2, v40
	v_add_co_ci_u32_e64 v41, null, s3, v41, vcc_lo
	s_delay_alu instid0(VALU_DEP_2) | instskip(NEXT) | instid1(VALU_DEP_1)
	.loc	1 33 51                         ; attention_fwd.py:33:51
	v_add_co_u32 v40, vcc_lo, v4, v1
	v_add_co_ci_u32_e64 v41, null, v41, v2, vcc_lo
	.loc	1 34 20 is_stmt 1               ; attention_fwd.py:34:20
	global_load_u16 v206, v[40:41], off
.LBB0_186:
	.loc	1 0 20 is_stmt 0                ; attention_fwd.py:0:20
	s_or_b32 exec_lo, exec_lo, s4
	.loc	1 34 51                         ; attention_fwd.py:34:51
	v_cmp_gt_i32_e32 vcc_lo, s100, v33
	.loc	1 31 32 is_stmt 1               ; attention_fwd.py:31:32
	s_and_b32 s36, s6, vcc_lo
	s_delay_alu instid0(SALU_CYCLE_1)
	.loc	1 34 20                         ; attention_fwd.py:34:20
	s_and_saveexec_b32 s4, s36
	s_cbranch_execz .LBB0_188
; %bb.187:
	.loc	1 33 39                         ; attention_fwd.py:33:39
	v_mul_lo_u32 v40, s1, v33
	s_delay_alu instid0(VALU_DEP_1) | instskip(NEXT) | instid1(VALU_DEP_1)
	.loc	1 33 21 is_stmt 0               ; attention_fwd.py:33:21
	v_ashrrev_i32_e32 v41, 31, v40
	v_lshlrev_b64 v[40:41], 1, v[40:41]
	s_delay_alu instid0(VALU_DEP_1) | instskip(NEXT) | instid1(VALU_DEP_1)
	v_add_co_u32 v4, vcc_lo, s2, v40
	v_add_co_ci_u32_e64 v41, null, s3, v41, vcc_lo
	s_delay_alu instid0(VALU_DEP_2) | instskip(NEXT) | instid1(VALU_DEP_1)
	.loc	1 33 51                         ; attention_fwd.py:33:51
	v_add_co_u32 v40, vcc_lo, v4, v1
	v_add_co_ci_u32_e64 v41, null, v41, v2, vcc_lo
	.loc	1 34 20 is_stmt 1               ; attention_fwd.py:34:20
	global_load_u16 v205, v[40:41], off
.LBB0_188:
	.loc	1 0 20 is_stmt 0                ; attention_fwd.py:0:20
	s_or_b32 exec_lo, exec_lo, s4
	.loc	1 34 51                         ; attention_fwd.py:34:51
	v_cmp_gt_i32_e32 vcc_lo, s100, v34
	v_mov_b32_e32 v202, 0
	v_mov_b32_e32 v204, 0
	.loc	1 31 32 is_stmt 1               ; attention_fwd.py:31:32
	s_and_b32 s37, s6, vcc_lo
	s_delay_alu instid0(SALU_CYCLE_1)
	.loc	1 34 20                         ; attention_fwd.py:34:20
	s_and_saveexec_b32 s4, s37
	s_cbranch_execz .LBB0_190
; %bb.189:
	.loc	1 33 39                         ; attention_fwd.py:33:39
	v_mul_lo_u32 v40, s1, v34
	s_delay_alu instid0(VALU_DEP_1) | instskip(NEXT) | instid1(VALU_DEP_1)
	.loc	1 33 21 is_stmt 0               ; attention_fwd.py:33:21
	v_ashrrev_i32_e32 v41, 31, v40
	v_lshlrev_b64 v[40:41], 1, v[40:41]
	s_delay_alu instid0(VALU_DEP_1) | instskip(NEXT) | instid1(VALU_DEP_1)
	v_add_co_u32 v4, vcc_lo, s2, v40
	v_add_co_ci_u32_e64 v41, null, s3, v41, vcc_lo
	s_delay_alu instid0(VALU_DEP_2) | instskip(NEXT) | instid1(VALU_DEP_1)
	.loc	1 33 51                         ; attention_fwd.py:33:51
	v_add_co_u32 v40, vcc_lo, v4, v1
	v_add_co_ci_u32_e64 v41, null, v41, v2, vcc_lo
	.loc	1 34 20 is_stmt 1               ; attention_fwd.py:34:20
	global_load_u16 v204, v[40:41], off
.LBB0_190:
	.loc	1 0 20 is_stmt 0                ; attention_fwd.py:0:20
	s_or_b32 exec_lo, exec_lo, s4
	s_clause 0x1
	s_load_b64 s[4:5], s[42:43], 0x10
	s_load_b32 s39, s[42:43], 0x38
	.loc	1 34 51                         ; attention_fwd.py:34:51
	v_cmp_gt_i32_e32 vcc_lo, s100, v35
	.loc	1 31 32 is_stmt 1               ; attention_fwd.py:31:32
	s_and_b32 s38, s6, vcc_lo
	s_delay_alu instid0(SALU_CYCLE_1)
	.loc	1 34 20                         ; attention_fwd.py:34:20
	s_and_saveexec_b32 s6, s38
	s_cbranch_execz .LBB0_192
; %bb.191:
	.loc	1 33 39                         ; attention_fwd.py:33:39
	v_mul_lo_u32 v40, s1, v35
	s_delay_alu instid0(VALU_DEP_1) | instskip(NEXT) | instid1(VALU_DEP_1)
	.loc	1 33 21 is_stmt 0               ; attention_fwd.py:33:21
	v_ashrrev_i32_e32 v41, 31, v40
	v_lshlrev_b64 v[40:41], 1, v[40:41]
	s_delay_alu instid0(VALU_DEP_1) | instskip(NEXT) | instid1(VALU_DEP_1)
	v_add_co_u32 v4, vcc_lo, s2, v40
	v_add_co_ci_u32_e64 v41, null, s3, v41, vcc_lo
	s_delay_alu instid0(VALU_DEP_2) | instskip(NEXT) | instid1(VALU_DEP_1)
	.loc	1 33 51                         ; attention_fwd.py:33:51
	v_add_co_u32 v40, vcc_lo, v4, v1
	v_add_co_ci_u32_e64 v41, null, v41, v2, vcc_lo
	.loc	1 34 20 is_stmt 1               ; attention_fwd.py:34:20
	global_load_u16 v202, v[40:41], off
.LBB0_192:
	.loc	1 0 20 is_stmt 0                ; attention_fwd.py:0:20
	s_or_b32 exec_lo, exec_lo, s6
	s_load_b32 s6, s[42:43], 0x34
	.loc	1 44 69 is_stmt 1               ; attention_fwd.py:44:69
	s_waitcnt lgkmcnt(0)
	v_mul_lo_u32 v3, s39, v3
	v_dual_mov_b32 v40, 0 :: v_dual_mov_b32 v41, 0
	s_delay_alu instid0(VALU_DEP_2) | instskip(NEXT) | instid1(VALU_DEP_1)
	.loc	1 44 51 is_stmt 0               ; attention_fwd.py:44:51
	v_ashrrev_i32_e32 v4, 31, v3
	v_lshlrev_b64 v[3:4], 1, v[3:4]
	.loc	1 45 20 is_stmt 1               ; attention_fwd.py:45:20
	s_and_saveexec_b32 s39, s0
	s_cbranch_execz .LBB0_194
; %bb.193:
	.loc	1 0 20 is_stmt 0                ; attention_fwd.py:0:20
	v_mul_lo_u32 v41, s6, v136
	s_delay_alu instid0(VALU_DEP_1) | instskip(NEXT) | instid1(VALU_DEP_1)
	v_ashrrev_i32_e32 v42, 31, v41
	v_lshlrev_b64 v[41:42], 1, v[41:42]
	s_delay_alu instid0(VALU_DEP_1) | instskip(NEXT) | instid1(VALU_DEP_1)
	v_add_co_u32 v41, vcc_lo, s4, v41
	v_add_co_ci_u32_e64 v42, null, s5, v42, vcc_lo
	s_delay_alu instid0(VALU_DEP_2) | instskip(NEXT) | instid1(VALU_DEP_1)
	v_add_co_u32 v41, vcc_lo, v41, v3
	v_add_co_ci_u32_e64 v42, null, v42, v4, vcc_lo
	.loc	1 45 20                         ; attention_fwd.py:45:20
	global_load_u16 v41, v[41:42], off
.LBB0_194:
	.loc	1 0 20                          ; attention_fwd.py:0:20
	s_or_b32 exec_lo, exec_lo, s39
	.loc	1 45 20                         ; attention_fwd.py:45:20
	s_and_saveexec_b32 s0, s7
	s_cbranch_execz .LBB0_196
; %bb.195:
	.loc	1 44 39 is_stmt 1               ; attention_fwd.py:44:39
	v_mul_lo_u32 v42, s6, v5
	s_delay_alu instid0(VALU_DEP_1) | instskip(NEXT) | instid1(VALU_DEP_1)
	.loc	1 44 21 is_stmt 0               ; attention_fwd.py:44:21
	v_ashrrev_i32_e32 v43, 31, v42
	v_lshlrev_b64 v[42:43], 1, v[42:43]
	s_delay_alu instid0(VALU_DEP_1) | instskip(NEXT) | instid1(VALU_DEP_1)
	v_add_co_u32 v5, vcc_lo, s4, v42
	v_add_co_ci_u32_e64 v40, null, s5, v43, vcc_lo
	s_delay_alu instid0(VALU_DEP_2) | instskip(NEXT) | instid1(VALU_DEP_1)
	.loc	1 44 51                         ; attention_fwd.py:44:51
	v_add_co_u32 v42, vcc_lo, v5, v3
	v_add_co_ci_u32_e64 v43, null, v40, v4, vcc_lo
	.loc	1 45 20 is_stmt 1               ; attention_fwd.py:45:20
	global_load_u16 v40, v[42:43], off
.LBB0_196:
	.loc	1 0 20 is_stmt 0                ; attention_fwd.py:0:20
	s_or_b32 exec_lo, exec_lo, s0
	v_dual_mov_b32 v5, 0 :: v_dual_mov_b32 v42, 0
	.loc	1 45 20                         ; attention_fwd.py:45:20
	s_and_saveexec_b32 s0, s8
	s_cbranch_execz .LBB0_198
; %bb.197:
	.loc	1 44 39 is_stmt 1               ; attention_fwd.py:44:39
	v_mul_lo_u32 v42, s6, v6
	s_delay_alu instid0(VALU_DEP_1) | instskip(NEXT) | instid1(VALU_DEP_1)
	.loc	1 44 21 is_stmt 0               ; attention_fwd.py:44:21
	v_ashrrev_i32_e32 v43, 31, v42
	v_lshlrev_b64 v[42:43], 1, v[42:43]
	s_delay_alu instid0(VALU_DEP_1) | instskip(NEXT) | instid1(VALU_DEP_1)
	v_add_co_u32 v6, vcc_lo, s4, v42
	v_add_co_ci_u32_e64 v43, null, s5, v43, vcc_lo
	s_delay_alu instid0(VALU_DEP_2) | instskip(NEXT) | instid1(VALU_DEP_1)
	.loc	1 44 51                         ; attention_fwd.py:44:51
	v_add_co_u32 v42, vcc_lo, v6, v3
	v_add_co_ci_u32_e64 v43, null, v43, v4, vcc_lo
	.loc	1 45 20 is_stmt 1               ; attention_fwd.py:45:20
	global_load_u16 v42, v[42:43], off
.LBB0_198:
	.loc	1 0 20 is_stmt 0                ; attention_fwd.py:0:20
	s_or_b32 exec_lo, exec_lo, s0
	.loc	1 45 20                         ; attention_fwd.py:45:20
	s_and_saveexec_b32 s0, s9
	s_cbranch_execz .LBB0_200
; %bb.199:
	.loc	1 44 39 is_stmt 1               ; attention_fwd.py:44:39
	v_mul_lo_u32 v5, s6, v7
	s_delay_alu instid0(VALU_DEP_1) | instskip(NEXT) | instid1(VALU_DEP_1)
	.loc	1 44 21 is_stmt 0               ; attention_fwd.py:44:21
	v_ashrrev_i32_e32 v6, 31, v5
	v_lshlrev_b64 v[5:6], 1, v[5:6]
	s_delay_alu instid0(VALU_DEP_1) | instskip(NEXT) | instid1(VALU_DEP_1)
	v_add_co_u32 v5, vcc_lo, s4, v5
	v_add_co_ci_u32_e64 v6, null, s5, v6, vcc_lo
	s_delay_alu instid0(VALU_DEP_2) | instskip(NEXT) | instid1(VALU_DEP_1)
	.loc	1 44 51                         ; attention_fwd.py:44:51
	v_add_co_u32 v5, vcc_lo, v5, v3
	v_add_co_ci_u32_e64 v6, null, v6, v4, vcc_lo
	.loc	1 45 20 is_stmt 1               ; attention_fwd.py:45:20
	global_load_u16 v5, v[5:6], off
.LBB0_200:
	.loc	1 0 20 is_stmt 0                ; attention_fwd.py:0:20
	s_or_b32 exec_lo, exec_lo, s0
	v_mov_b32_e32 v7, 0
	v_mov_b32_e32 v43, 0
	.loc	1 45 20                         ; attention_fwd.py:45:20
	s_and_saveexec_b32 s0, s10
	s_cbranch_execz .LBB0_202
; %bb.201:
	.loc	1 44 39 is_stmt 1               ; attention_fwd.py:44:39
	v_mul_lo_u32 v43, s6, v8
	s_delay_alu instid0(VALU_DEP_1) | instskip(NEXT) | instid1(VALU_DEP_1)
	.loc	1 44 21 is_stmt 0               ; attention_fwd.py:44:21
	v_ashrrev_i32_e32 v44, 31, v43
	v_lshlrev_b64 v[43:44], 1, v[43:44]
	s_delay_alu instid0(VALU_DEP_1) | instskip(NEXT) | instid1(VALU_DEP_1)
	v_add_co_u32 v6, vcc_lo, s4, v43
	v_add_co_ci_u32_e64 v8, null, s5, v44, vcc_lo
	s_delay_alu instid0(VALU_DEP_2) | instskip(NEXT) | instid1(VALU_DEP_1)
	.loc	1 44 51                         ; attention_fwd.py:44:51
	v_add_co_u32 v43, vcc_lo, v6, v3
	v_add_co_ci_u32_e64 v44, null, v8, v4, vcc_lo
	.loc	1 45 20 is_stmt 1               ; attention_fwd.py:45:20
	global_load_u16 v43, v[43:44], off
.LBB0_202:
	.loc	1 0 20 is_stmt 0                ; attention_fwd.py:0:20
	s_or_b32 exec_lo, exec_lo, s0
	.loc	1 45 20                         ; attention_fwd.py:45:20
	s_and_saveexec_b32 s0, s11
	s_cbranch_execz .LBB0_204
; %bb.203:
	.loc	1 44 39 is_stmt 1               ; attention_fwd.py:44:39
	v_mul_lo_u32 v6, s6, v9
	s_delay_alu instid0(VALU_DEP_1) | instskip(NEXT) | instid1(VALU_DEP_1)
	.loc	1 44 21 is_stmt 0               ; attention_fwd.py:44:21
	v_ashrrev_i32_e32 v7, 31, v6
	v_lshlrev_b64 v[6:7], 1, v[6:7]
	s_delay_alu instid0(VALU_DEP_1) | instskip(NEXT) | instid1(VALU_DEP_1)
	v_add_co_u32 v6, vcc_lo, s4, v6
	v_add_co_ci_u32_e64 v7, null, s5, v7, vcc_lo
	s_delay_alu instid0(VALU_DEP_2) | instskip(NEXT) | instid1(VALU_DEP_1)
	.loc	1 44 51                         ; attention_fwd.py:44:51
	v_add_co_u32 v6, vcc_lo, v6, v3
	v_add_co_ci_u32_e64 v7, null, v7, v4, vcc_lo
	.loc	1 45 20 is_stmt 1               ; attention_fwd.py:45:20
	global_load_u16 v7, v[6:7], off
.LBB0_204:
	.loc	1 0 20 is_stmt 0                ; attention_fwd.py:0:20
	s_or_b32 exec_lo, exec_lo, s0
	v_mov_b32_e32 v6, 0
	v_mov_b32_e32 v8, 0
	;; [unrolled: 46-line block ×4, first 2 shown]
	.loc	1 45 20                         ; attention_fwd.py:45:20
	s_and_saveexec_b32 s0, s16
	s_cbranch_execz .LBB0_214
; %bb.213:
	.loc	1 44 39 is_stmt 1               ; attention_fwd.py:44:39
	v_mul_lo_u32 v12, s6, v14
	s_delay_alu instid0(VALU_DEP_1) | instskip(NEXT) | instid1(VALU_DEP_1)
	.loc	1 44 21 is_stmt 0               ; attention_fwd.py:44:21
	v_ashrrev_i32_e32 v13, 31, v12
	v_lshlrev_b64 v[12:13], 1, v[12:13]
	s_delay_alu instid0(VALU_DEP_1) | instskip(NEXT) | instid1(VALU_DEP_1)
	v_add_co_u32 v12, vcc_lo, s4, v12
	v_add_co_ci_u32_e64 v13, null, s5, v13, vcc_lo
	s_delay_alu instid0(VALU_DEP_2) | instskip(NEXT) | instid1(VALU_DEP_1)
	.loc	1 44 51                         ; attention_fwd.py:44:51
	v_add_co_u32 v12, vcc_lo, v12, v3
	v_add_co_ci_u32_e64 v13, null, v13, v4, vcc_lo
	.loc	1 45 20 is_stmt 1               ; attention_fwd.py:45:20
	global_load_u16 v12, v[12:13], off
.LBB0_214:
	.loc	1 0 20 is_stmt 0                ; attention_fwd.py:0:20
	s_or_b32 exec_lo, exec_lo, s0
	.loc	1 45 20                         ; attention_fwd.py:45:20
	s_and_saveexec_b32 s0, s17
	s_cbranch_execz .LBB0_216
; %bb.215:
	.loc	1 44 39 is_stmt 1               ; attention_fwd.py:44:39
	v_mul_lo_u32 v13, s6, v15
	s_delay_alu instid0(VALU_DEP_1) | instskip(NEXT) | instid1(VALU_DEP_1)
	.loc	1 44 21 is_stmt 0               ; attention_fwd.py:44:21
	v_ashrrev_i32_e32 v14, 31, v13
	v_lshlrev_b64 v[13:14], 1, v[13:14]
	s_delay_alu instid0(VALU_DEP_1) | instskip(NEXT) | instid1(VALU_DEP_1)
	v_add_co_u32 v10, vcc_lo, s4, v13
	v_add_co_ci_u32_e64 v14, null, s5, v14, vcc_lo
	s_delay_alu instid0(VALU_DEP_2) | instskip(NEXT) | instid1(VALU_DEP_1)
	.loc	1 44 51                         ; attention_fwd.py:44:51
	v_add_co_u32 v13, vcc_lo, v10, v3
	v_add_co_ci_u32_e64 v14, null, v14, v4, vcc_lo
	.loc	1 45 20 is_stmt 1               ; attention_fwd.py:45:20
	global_load_u16 v10, v[13:14], off
.LBB0_216:
	.loc	1 0 20 is_stmt 0                ; attention_fwd.py:0:20
	s_or_b32 exec_lo, exec_lo, s0
	v_dual_mov_b32 v13, 0 :: v_dual_mov_b32 v14, 0
	.loc	1 45 20                         ; attention_fwd.py:45:20
	s_and_saveexec_b32 s0, s18
	s_cbranch_execz .LBB0_218
; %bb.217:
	.loc	1 44 39 is_stmt 1               ; attention_fwd.py:44:39
	v_mul_lo_u32 v14, s6, v16
	s_delay_alu instid0(VALU_DEP_1) | instskip(NEXT) | instid1(VALU_DEP_1)
	.loc	1 44 21 is_stmt 0               ; attention_fwd.py:44:21
	v_ashrrev_i32_e32 v15, 31, v14
	v_lshlrev_b64 v[14:15], 1, v[14:15]
	s_delay_alu instid0(VALU_DEP_1) | instskip(NEXT) | instid1(VALU_DEP_1)
	v_add_co_u32 v14, vcc_lo, s4, v14
	v_add_co_ci_u32_e64 v15, null, s5, v15, vcc_lo
	s_delay_alu instid0(VALU_DEP_2) | instskip(NEXT) | instid1(VALU_DEP_1)
	.loc	1 44 51                         ; attention_fwd.py:44:51
	v_add_co_u32 v14, vcc_lo, v14, v3
	v_add_co_ci_u32_e64 v15, null, v15, v4, vcc_lo
	.loc	1 45 20 is_stmt 1               ; attention_fwd.py:45:20
	global_load_u16 v14, v[14:15], off
.LBB0_218:
	.loc	1 0 20 is_stmt 0                ; attention_fwd.py:0:20
	s_or_b32 exec_lo, exec_lo, s0
	.loc	1 45 20                         ; attention_fwd.py:45:20
	s_and_saveexec_b32 s0, s19
	s_cbranch_execz .LBB0_220
; %bb.219:
	.loc	1 44 39 is_stmt 1               ; attention_fwd.py:44:39
	v_mul_lo_u32 v15, s6, v17
	s_delay_alu instid0(VALU_DEP_1) | instskip(NEXT) | instid1(VALU_DEP_1)
	.loc	1 44 21 is_stmt 0               ; attention_fwd.py:44:21
	v_ashrrev_i32_e32 v16, 31, v15
	v_lshlrev_b64 v[15:16], 1, v[15:16]
	s_delay_alu instid0(VALU_DEP_1) | instskip(NEXT) | instid1(VALU_DEP_1)
	v_add_co_u32 v13, vcc_lo, s4, v15
	v_add_co_ci_u32_e64 v16, null, s5, v16, vcc_lo
	s_delay_alu instid0(VALU_DEP_2) | instskip(NEXT) | instid1(VALU_DEP_1)
	.loc	1 44 51                         ; attention_fwd.py:44:51
	v_add_co_u32 v15, vcc_lo, v13, v3
	v_add_co_ci_u32_e64 v16, null, v16, v4, vcc_lo
	.loc	1 45 20 is_stmt 1               ; attention_fwd.py:45:20
	global_load_u16 v13, v[15:16], off
.LBB0_220:
	.loc	1 0 20 is_stmt 0                ; attention_fwd.py:0:20
	s_or_b32 exec_lo, exec_lo, s0
	v_dual_mov_b32 v15, 0 :: v_dual_mov_b32 v16, 0
	;; [unrolled: 45-line block ×10, first 2 shown]
	.loc	1 45 20                         ; attention_fwd.py:45:20
	s_and_saveexec_b32 s0, s37
	s_cbranch_execz .LBB0_254
; %bb.253:
	.loc	1 44 39 is_stmt 1               ; attention_fwd.py:44:39
	v_mul_lo_u32 v32, s6, v34
	s_delay_alu instid0(VALU_DEP_1) | instskip(NEXT) | instid1(VALU_DEP_1)
	.loc	1 44 21 is_stmt 0               ; attention_fwd.py:44:21
	v_ashrrev_i32_e32 v33, 31, v32
	v_lshlrev_b64 v[32:33], 1, v[32:33]
	s_delay_alu instid0(VALU_DEP_1) | instskip(NEXT) | instid1(VALU_DEP_1)
	v_add_co_u32 v32, vcc_lo, s4, v32
	v_add_co_ci_u32_e64 v33, null, s5, v33, vcc_lo
	s_delay_alu instid0(VALU_DEP_2) | instskip(NEXT) | instid1(VALU_DEP_1)
	.loc	1 44 51                         ; attention_fwd.py:44:51
	v_add_co_u32 v32, vcc_lo, v32, v3
	v_add_co_ci_u32_e64 v33, null, v33, v4, vcc_lo
	.loc	1 45 20 is_stmt 1               ; attention_fwd.py:45:20
	global_load_u16 v32, v[32:33], off
.LBB0_254:
	.loc	1 0 20 is_stmt 0                ; attention_fwd.py:0:20
	s_or_b32 exec_lo, exec_lo, s0
	.loc	1 45 20                         ; attention_fwd.py:45:20
	s_and_saveexec_b32 s0, s38
	s_cbranch_execz .LBB0_256
; %bb.255:
	.loc	1 44 39 is_stmt 1               ; attention_fwd.py:44:39
	v_mul_lo_u32 v33, s6, v35
	s_delay_alu instid0(VALU_DEP_1) | instskip(NEXT) | instid1(VALU_DEP_1)
	.loc	1 44 21 is_stmt 0               ; attention_fwd.py:44:21
	v_ashrrev_i32_e32 v34, 31, v33
	v_lshlrev_b64 v[33:34], 1, v[33:34]
	s_delay_alu instid0(VALU_DEP_1) | instskip(NEXT) | instid1(VALU_DEP_1)
	v_add_co_u32 v31, vcc_lo, s4, v33
	v_add_co_ci_u32_e64 v34, null, s5, v34, vcc_lo
	s_delay_alu instid0(VALU_DEP_2) | instskip(NEXT) | instid1(VALU_DEP_1)
	.loc	1 44 51                         ; attention_fwd.py:44:51
	v_add_co_u32 v33, vcc_lo, v31, v3
	v_add_co_ci_u32_e64 v34, null, v34, v4, vcc_lo
	.loc	1 45 20 is_stmt 1               ; attention_fwd.py:45:20
	global_load_u16 v31, v[33:34], off
.LBB0_256:
	.loc	1 0 20 is_stmt 0                ; attention_fwd.py:0:20
	s_or_b32 exec_lo, exec_lo, s0
	.loc	1 17 46 is_stmt 1               ; attention_fwd.py:17:46
	v_lshrrev_b32_e32 v33, 1, v37
	.loc	1 20 54                         ; attention_fwd.py:20:54
	v_lshrrev_b32_e32 v35, 4, v0
	.loc	1 45 20                         ; attention_fwd.py:45:20
	v_lshlrev_b32_e32 v34, 1, v0
                                        ; implicit-def: $vgpr255 : SGPR spill to VGPR lane
	s_load_b64 s[68:69], s[42:43], 0x18
	v_writelane_b32 v255, s42, 0
	.loc	1 17 33                         ; attention_fwd.py:17:33
	v_or3_b32 v163, v36, v33, s41
	.loc	1 20 54                         ; attention_fwd.py:20:54
	v_bfe_u32 v33, v0, 4, 1
	s_load_b32 s102, s[42:43], 0x20
	.loc	1 45 20                         ; attention_fwd.py:45:20
	v_add_nc_u32_e32 v143, 0, v34
	v_or_b32_e32 v37, 0x2600, v34
	.loc	1 20 54                         ; attention_fwd.py:20:54
	s_clause 0x1                            ; 8-byte Folded Spill
	scratch_store_b32 off, v33, off offset:76
	scratch_store_b32 off, v35, off offset:80
	v_or_b32_e32 v33, 62, v35
	.loc	1 45 20                         ; attention_fwd.py:45:20
	v_or_b32_e32 v35, 0xe00, v34
	v_writelane_b32 v255, s43, 1
	v_or_b32_e32 v179, v39, v38
	v_lshl_add_u32 v164, v36, 1, 0
	scratch_store_b32 off, v33, off offset:376 ; 4-byte Folded Spill
	s_waitcnt vmcnt(0) lgkmcnt(0)
	s_waitcnt_vscnt null, 0x0
	s_barrier
	v_or_b32_e32 v33, 0x600, v34
	buffer_gl0_inv
	ds_store_b16 v143, v41
	ds_store_b16 v143, v40 offset:512
	ds_store_b16 v143, v42 offset:1024
	;; [unrolled: 1-line block ×7, first 2 shown]
	v_or_b32_e32 v7, 0x2e00, v34
	v_add_nc_u32_e32 v45, 0, v35
	v_add_nc_u32_e32 v44, 0, v33
	v_or_b32_e32 v33, 0x1600, v34
	v_or_b32_e32 v35, 0x1e00, v34
	;; [unrolled: 1-line block ×3, first 2 shown]
	ds_store_b16 v143, v12 offset:5120
	ds_store_b16 v143, v14 offset:6144
	;; [unrolled: 1-line block ×8, first 2 shown]
	v_add_nc_u32_e32 v12, 0, v7
	v_or_b32_e32 v7, 0x3e00, v34
	v_add_nc_u32_e32 v9, 0, v33
	v_add_nc_u32_e32 v11, 0, v35
	;; [unrolled: 1-line block ×5, first 2 shown]
	v_and_b32_e32 v187, 16, v0
	s_mov_b32 s36, 0
	.loc	1 31 32                         ; attention_fwd.py:31:32
	s_cmp_lt_i32 s41, 0
	.loc	1 45 20                         ; attention_fwd.py:45:20
	ds_store_b16 v143, v21 offset:10752
	ds_store_b16 v143, v24 offset:11264
	;; [unrolled: 1-line block ×8, first 2 shown]
	s_clause 0x7                            ; 32-byte Folded Spill
	scratch_store_b32 off, v44, off offset:84
	scratch_store_b32 off, v45, off offset:88
	;; [unrolled: 1-line block ×8, first 2 shown]
	ds_store_b16 v45, v6
	ds_store_b16 v9, v10
	ds_store_b16 v11, v15
	ds_store_b16 v44, v5
	ds_store_b16 v33, v19
	ds_store_b16 v12, v23
	ds_store_b16 v8, v27
	ds_store_b16 v7, v31
	.loc	1 31 32                         ; attention_fwd.py:31:32
	s_cbranch_scc1 .LBB0_387
; %bb.257:                              ; %.lr.ph
	.loc	1 0 32 is_stmt 0                ; attention_fwd.py:0:32
	v_mov_b32_e32 v5, 0x7632
	v_cmp_eq_u32_e32 vcc_lo, 0, v187
	v_mov_b32_e32 v0, 0x5410
	.loc	1 31 32                         ; attention_fwd.py:31:32
	v_or_b32_e32 v6, 0x7e, v136
	v_or_b32_e32 v7, 0x7c, v136
	v_writelane_b32 v255, s41, 2
	v_cndmask_b32_e32 v5, 0x3276, v5, vcc_lo
	v_cndmask_b32_e32 v0, 0x1054, v0, vcc_lo
	v_add_co_u32 v152, vcc_lo, s2, v1
	s_delay_alu instid0(VALU_DEP_1) | instskip(NEXT) | instid1(VALU_DEP_4)
	v_add_co_ci_u32_e64 v153, null, s3, v2, vcc_lo
	v_lshl_or_b32 v5, v5, 8, v5
	v_mul_lo_u32 v2, s6, v6
	v_lshl_or_b32 v0, v0, 8, v0
	v_add_co_u32 v154, vcc_lo, s4, v3
	s_delay_alu instid0(VALU_DEP_4) | instskip(SKIP_1) | instid1(VALU_DEP_3)
	v_and_b32_e32 v5, 0x760076, v5
	s_lshl_b32 s0, s6, 6
	v_and_b32_e32 v0, 0x540054, v0
	v_writelane_b32 v255, s0, 3
	s_lshl_b32 s0, s1, 6
	v_lshl_or_b32 v1, v5, 4, v5
	v_add_co_ci_u32_e64 v155, null, s5, v4, vcc_lo
	v_lshl_or_b32 v0, v0, 4, v0
	v_writelane_b32 v255, s0, 4
	s_delay_alu instid0(VALU_DEP_4)
	v_and_b32_e32 v159, 0x7060706, v1
	v_mul_lo_u32 v1, s6, v7
	scratch_store_b32 off, v2, off offset:120 ; 4-byte Folded Spill
	v_mul_lo_u32 v2, s1, v6
	scratch_store_b32 off, v187, off offset:380 ; 4-byte Folded Spill
	v_and_b32_e32 v158, 0x5040504, v0
	v_or_b32_e32 v0, 0x7a, v136
	s_movk_i32 vcc_hi, 0xffc0
	s_mov_b32 s37, s36
	s_mov_b32 s38, s36
	;; [unrolled: 1-line block ×3, first 2 shown]
	scratch_store_b32 off, v2, off offset:124 ; 4-byte Folded Spill
	v_mul_lo_u32 v2, s1, v7
	scratch_store_b32 off, v1, off offset:128 ; 4-byte Folded Spill
	v_or_b32_e32 v1, 0x78, v136
	s_mov_b32 s40, s36
	s_mov_b32 s41, s36
	;; [unrolled: 1-line block ×5, first 2 shown]
	scratch_store_b32 off, v2, off offset:132 ; 4-byte Folded Spill
	v_mul_lo_u32 v2, s6, v0
	v_mul_lo_u32 v0, s1, v0
	s_mov_b32 s99, s36
	s_mov_b32 s103, s36
	v_mov_b32_e32 v201, 0xff800000
	s_clause 0x1                            ; 8-byte Folded Spill
	scratch_store_b32 off, v2, off offset:136
	scratch_store_b32 off, v0, off offset:140
	v_mul_lo_u32 v0, s6, v1
	v_mul_lo_u32 v1, s1, v1
	v_or_b32_e32 v2, 0x76, v136
	s_clause 0x1                            ; 8-byte Folded Spill
	scratch_store_b32 off, v0, off offset:144
	scratch_store_b32 off, v1, off offset:148
	v_mul_lo_u32 v1, s6, v2
	v_mul_lo_u32 v2, s1, v2
	v_or_b32_e32 v0, 0x74, v136
	;; [unrolled: 6-line block ×7, first 2 shown]
	scratch_store_b32 off, v0, off offset:192 ; 4-byte Folded Spill
	v_or_b32_e32 v0, 0x68, v136
	s_delay_alu instid0(VALU_DEP_1)
	v_mul_lo_u32 v3, s6, v0
	scratch_store_b32 off, v1, off offset:196 ; 4-byte Folded Spill
	v_mul_lo_u32 v1, s6, v2
	v_mul_lo_u32 v2, s1, v2
	;; [unrolled: 1-line block ×3, first 2 shown]
	s_clause 0x2                            ; 12-byte Folded Spill
	scratch_store_b32 off, v1, off offset:200
	scratch_store_b32 off, v2, off offset:204
	;; [unrolled: 1-line block ×3, first 2 shown]
	v_or_b32_e32 v1, 0x66, v136
	v_or_b32_e32 v2, 0x64, v136
	s_delay_alu instid0(VALU_DEP_2)
	v_mul_lo_u32 v0, s6, v1
	v_mul_lo_u32 v1, s1, v1
	s_clause 0x2                            ; 12-byte Folded Spill
	scratch_store_b32 off, v3, off offset:208
	scratch_store_b32 off, v0, off offset:216
	;; [unrolled: 1-line block ×3, first 2 shown]
	v_mul_lo_u32 v1, s6, v2
	v_or_b32_e32 v0, 0x62, v136
	scratch_store_b32 off, v1, off offset:224 ; 4-byte Folded Spill
	v_mul_lo_u32 v1, s1, v2
	v_mul_lo_u32 v2, s6, v0
	v_mul_lo_u32 v0, s1, v0
	s_clause 0x1                            ; 8-byte Folded Spill
	scratch_store_b32 off, v1, off offset:228
	scratch_store_b32 off, v2, off offset:232
	v_or_b32_e32 v1, 0x60, v136
	v_or_b32_e32 v2, 0x5e, v136
	s_delay_alu instid0(VALU_DEP_2)
	v_mul_lo_u32 v3, s6, v1
	v_mul_lo_u32 v1, s1, v1
	scratch_store_b32 off, v0, off offset:236 ; 4-byte Folded Spill
	v_or_b32_e32 v0, 0x5c, v136
	s_clause 0x1                            ; 8-byte Folded Spill
	scratch_store_b32 off, v3, off offset:240
	scratch_store_b32 off, v1, off offset:244
	v_mul_lo_u32 v1, s6, v2
	scratch_store_b32 off, v1, off offset:248 ; 4-byte Folded Spill
	v_mul_lo_u32 v1, s1, v2
	scratch_store_b32 off, v1, off offset:252 ; 4-byte Folded Spill
	v_mul_lo_u32 v1, s6, v0
	v_mul_lo_u32 v0, s1, v0
	s_clause 0x1                            ; 8-byte Folded Spill
	scratch_store_b32 off, v1, off offset:256
	scratch_store_b32 off, v0, off offset:260
	v_or_b32_e32 v0, 0x5a, v136
	s_delay_alu instid0(VALU_DEP_1)
	v_mul_lo_u32 v1, s6, v0
	v_mul_lo_u32 v0, s1, v0
	s_clause 0x1                            ; 8-byte Folded Spill
	scratch_store_b32 off, v1, off offset:264
	scratch_store_b32 off, v0, off offset:268
	v_or_b32_e32 v0, 0x58, v136
	s_delay_alu instid0(VALU_DEP_1)
	;; [unrolled: 7-line block ×13, first 2 shown]
	v_mul_lo_u32 v1, s6, v0
	v_mul_lo_u32 v0, s1, v0
	s_clause 0x1                            ; 8-byte Folded Spill
	scratch_store_b32 off, v0, off offset:364
	scratch_store_b32 off, v136, off offset:116
	v_or_b32_e32 v0, 64, v136
	scratch_store_b32 off, v1, off offset:360 ; 4-byte Folded Spill
	v_mul_lo_u32 v1, s6, v0
	v_mul_lo_u32 v0, s1, v0
	s_clause 0x1                            ; 8-byte Folded Spill
	scratch_store_b32 off, v1, off offset:368
	scratch_store_b32 off, v0, off offset:372
	v_xor_b32_e32 v0, 16, v179
	s_delay_alu instid0(VALU_DEP_1) | instskip(SKIP_1) | instid1(VALU_DEP_1)
	v_add_nc_u32_e32 v233, 0, v0
	v_xor_b32_e32 v0, 32, v179
	v_add_nc_u32_e32 v234, 0, v0
	v_xor_b32_e32 v0, 48, v179
	s_delay_alu instid0(VALU_DEP_1) | instskip(SKIP_1) | instid1(VALU_DEP_1)
	v_add_nc_u32_e32 v235, 0, v0
	v_xor_b32_e32 v0, 64, v179
	v_add_nc_u32_e32 v236, 0, v0
	;; [unrolled: 5-line block ×7, first 2 shown]
	v_xor_b32_e32 v0, 0xf0, v179
	s_delay_alu instid0(VALU_DEP_1) | instskip(NEXT) | instid1(VALU_DEP_1)
	v_dual_mov_b32 v0, 0 :: v_dual_add_nc_u32 v247, 0, v0
	v_mov_b32_e32 v1, v0
	v_mov_b32_e32 v2, v0
	;; [unrolled: 1-line block ×64, first 2 shown]
	s_branch .LBB0_259
.LBB0_258:                              ;   in Loop: Header=BB0_259 Depth=1
	.loc	1 0 32                          ; attention_fwd.py:0:32
	s_or_b32 exec_lo, exec_lo, s1
	.loc	1 46 27 is_stmt 1               ; attention_fwd.py:46:27
	v_cvt_f16_f32_e64 v128, v128
	v_cvt_f16_f32_e64 v129, v129
	;; [unrolled: 1-line block ×6, first 2 shown]
	v_pack_b32_f16 v129, v128, v129
	v_cvt_f16_f32_e64 v134, v134
	v_pack_b32_f16 v131, v130, v131
	v_cvt_f16_f32_e64 v135, v135
	v_pack_b32_f16 v133, v132, v133
	v_permlanex16_b32 v167, v129, s98, 0xfedcba98 op_sel:[1,0]
	.loc	1 31 32                         ; attention_fwd.py:31:32
	v_readlane_b32 s0, v255, 3
	s_add_i32 vcc_hi, vcc_hi, 64
	.loc	1 46 27                         ; attention_fwd.py:46:27
	v_pack_b32_f16 v135, v134, v135
.Ltmp1:
	.file	2 "/root/.local/lib/python3.13/site-packages/triton/language" "standard.py"
	.loc	2 263 15                        ; standard.py:263:15 @[ standard.py:293:36 @[ attention_fwd.py:42:38 ] ]
	v_add_f32_e32 v169, v169, v194
.Ltmp2:
	.loc	1 46 27                         ; attention_fwd.py:46:27
	v_perm_b32 v128, v167, v129, v158
	v_perm_b32 v129, v167, v129, v159
	v_permlanex16_b32 v167, v131, s98, 0xfedcba98 op_sel:[1,0]
	v_mov_b32_e32 v194, v185
	.loc	1 31 32                         ; attention_fwd.py:31:32
	s_add_i32 s103, s103, s0
	v_readlane_b32 s0, v255, 4
	s_delay_alu instid0(VALU_DEP_3) | instskip(SKIP_4) | instid1(VALU_DEP_2)
	.loc	1 46 27                         ; attention_fwd.py:46:27
	v_perm_b32 v130, v167, v131, v158
	v_perm_b32 v131, v167, v131, v159
	v_permlanex16_b32 v167, v133, s98, 0xfedcba98 op_sel:[1,0]
	.loc	1 31 32                         ; attention_fwd.py:31:32
	s_add_i32 s99, s99, s0
	v_readlane_b32 s0, v255, 2
	.loc	1 46 27                         ; attention_fwd.py:46:27
	v_perm_b32 v132, v167, v133, v158
	v_perm_b32 v133, v167, v133, v159
	v_permlanex16_b32 v167, v135, s98, 0xfedcba98 op_sel:[1,0]
	.loc	1 31 32                         ; attention_fwd.py:31:32
	s_cmp_lt_i32 vcc_hi, s0
	s_delay_alu instid0(VALU_DEP_1) | instskip(SKIP_2) | instid1(VALU_DEP_1)
	.loc	1 46 27                         ; attention_fwd.py:46:27
	v_perm_b32 v134, v167, v135, v158
	v_perm_b32 v135, v167, v135, v159
	.loc	1 41 29                         ; attention_fwd.py:41:29
	v_sub_f32_e32 v167, v201, v170
	.loc	1 41 23 is_stmt 0               ; attention_fwd.py:41:23
	v_mul_f32_e32 v171, 0x3fb8aa3b, v167
	s_delay_alu instid0(VALU_DEP_1) | instskip(SKIP_1) | instid1(VALU_DEP_1)
	v_cmp_gt_f32_e32 vcc_lo, 0xc2fc0000, v171
	v_cndmask_b32_e64 v171, 0, 0x42800000, vcc_lo
	v_fmac_f32_e32 v171, 0x3fb8aa3b, v167
	s_delay_alu instid0(VALU_DEP_1)
	v_exp_f32_e32 v167, v171
	v_cndmask_b32_e64 v171, 0, 0xffffffc0, vcc_lo
	s_waitcnt_depctr depctr_va_vdst(0)
	v_ldexp_f32 v201, v167, v171
	.loc	1 45 20 is_stmt 1               ; attention_fwd.py:45:20
	ds_load_u16 v171, v164
	ds_load_u16 v172, v164 offset:512
	ds_load_u16 v173, v164 offset:1024
	;; [unrolled: 1-line block ×7, first 2 shown]
	s_waitcnt lgkmcnt(7)
	ds_load_u16_d16_hi v171, v164 offset:256
	s_waitcnt lgkmcnt(7)
	ds_load_u16_d16_hi v172, v164 offset:768
	;; [unrolled: 2-line block ×8, first 2 shown]
	.loc	1 43 20                         ; attention_fwd.py:43:20
	v_mul_f32_e32 v0, v0, v201
	v_mul_f32_e32 v1, v1, v201
	;; [unrolled: 1-line block ×19, first 2 shown]
	.loc	1 46 37                         ; attention_fwd.py:46:37
	s_waitcnt lgkmcnt(0)
	v_wmma_f32_16x16x16_f16 v[0:7], v[171:178], v[128:135], v[0:7]
	.loc	1 45 20                         ; attention_fwd.py:45:20
	ds_load_u16 v171, v164 offset:32
	ds_load_u16 v172, v164 offset:544
	;; [unrolled: 1-line block ×8, first 2 shown]
	.loc	1 43 20                         ; attention_fwd.py:43:20
	v_mul_f32_e32 v19, v19, v201
	v_mul_f32_e32 v20, v20, v201
	;; [unrolled: 1-line block ×8, first 2 shown]
	.loc	1 45 20                         ; attention_fwd.py:45:20
	s_waitcnt lgkmcnt(7)
	ds_load_u16_d16_hi v171, v164 offset:288
	s_waitcnt lgkmcnt(7)
	ds_load_u16_d16_hi v172, v164 offset:800
	;; [unrolled: 2-line block ×8, first 2 shown]
	.loc	1 43 20                         ; attention_fwd.py:43:20
	v_mul_f32_e32 v27, v27, v201
	v_mul_f32_e32 v28, v28, v201
	v_mul_f32_e32 v29, v29, v201
	v_mul_f32_e32 v30, v30, v201
	v_mul_f32_e32 v31, v31, v201
	v_mul_f32_e32 v32, v32, v201
	v_mul_f32_e32 v33, v33, v201
	v_mul_f32_e32 v34, v34, v201
	v_mul_f32_e32 v35, v35, v201
	v_mul_f32_e32 v36, v36, v201
	v_mul_f32_e32 v37, v37, v201
	v_mul_f32_e32 v38, v38, v201
	.loc	1 42 28                         ; attention_fwd.py:42:28
	v_fmac_f32_e32 v169, v248, v201
	.loc	1 43 20                         ; attention_fwd.py:43:20
	v_mul_f32_e32 v39, v39, v201
	v_mul_f32_e32 v40, v40, v201
	v_mul_f32_e32 v41, v41, v201
	v_mul_f32_e32 v42, v42, v201
	v_dual_mov_b32 v248, v169 :: v_dual_mul_f32 v43, v43, v201
	.loc	1 46 37                         ; attention_fwd.py:46:37
	s_waitcnt lgkmcnt(0)
	v_wmma_f32_16x16x16_f16 v[8:15], v[171:178], v[128:135], v[8:15]
	.loc	1 45 20                         ; attention_fwd.py:45:20
	ds_load_u16 v171, v164 offset:64
	ds_load_u16 v172, v164 offset:576
	;; [unrolled: 1-line block ×8, first 2 shown]
	.loc	1 43 20                         ; attention_fwd.py:43:20
	v_mul_f32_e32 v44, v44, v201
	v_mul_f32_e32 v45, v45, v201
	;; [unrolled: 1-line block ×7, first 2 shown]
	.loc	1 45 20                         ; attention_fwd.py:45:20
	s_waitcnt lgkmcnt(7)
	ds_load_u16_d16_hi v171, v164 offset:320
	s_waitcnt lgkmcnt(7)
	ds_load_u16_d16_hi v172, v164 offset:832
	;; [unrolled: 2-line block ×8, first 2 shown]
	.loc	1 43 20                         ; attention_fwd.py:43:20
	v_mul_f32_e32 v51, v51, v201
	v_mul_f32_e32 v52, v52, v201
	;; [unrolled: 1-line block ×13, first 2 shown]
	v_mov_b32_e32 v201, v170
	.loc	1 46 37                         ; attention_fwd.py:46:37
	s_waitcnt lgkmcnt(0)
	v_wmma_f32_16x16x16_f16 v[16:23], v[171:178], v[128:135], v[16:23]
	.loc	1 45 20                         ; attention_fwd.py:45:20
	ds_load_u16 v171, v164 offset:96
	ds_load_u16 v172, v164 offset:608
	ds_load_u16 v173, v164 offset:1120
	ds_load_u16 v174, v164 offset:1632
	ds_load_u16 v175, v164 offset:2144
	ds_load_u16 v176, v164 offset:2656
	ds_load_u16 v177, v164 offset:3168
	ds_load_u16 v178, v164 offset:3680
	s_waitcnt lgkmcnt(7)
	ds_load_u16_d16_hi v171, v164 offset:352
	s_waitcnt lgkmcnt(7)
	ds_load_u16_d16_hi v172, v164 offset:864
	s_waitcnt lgkmcnt(7)
	ds_load_u16_d16_hi v173, v164 offset:1376
	s_waitcnt lgkmcnt(7)
	ds_load_u16_d16_hi v174, v164 offset:1888
	s_waitcnt lgkmcnt(7)
	ds_load_u16_d16_hi v175, v164 offset:2400
	s_waitcnt lgkmcnt(7)
	ds_load_u16_d16_hi v176, v164 offset:2912
	s_waitcnt lgkmcnt(7)
	ds_load_u16_d16_hi v177, v164 offset:3424
	s_waitcnt lgkmcnt(7)
	ds_load_u16_d16_hi v178, v164 offset:3936
	.loc	1 46 37                         ; attention_fwd.py:46:37
	s_waitcnt lgkmcnt(0)
	v_wmma_f32_16x16x16_f16 v[24:31], v[171:178], v[128:135], v[24:31]
	.loc	1 45 20                         ; attention_fwd.py:45:20
	ds_load_u16 v171, v164 offset:128
	ds_load_u16 v172, v164 offset:640
	ds_load_u16 v173, v164 offset:1152
	ds_load_u16 v174, v164 offset:1664
	ds_load_u16 v175, v164 offset:2176
	ds_load_u16 v176, v164 offset:2688
	ds_load_u16 v177, v164 offset:3200
	ds_load_u16 v178, v164 offset:3712
	s_waitcnt lgkmcnt(7)
	ds_load_u16_d16_hi v171, v164 offset:384
	s_waitcnt lgkmcnt(7)
	ds_load_u16_d16_hi v172, v164 offset:896
	s_waitcnt lgkmcnt(7)
	ds_load_u16_d16_hi v173, v164 offset:1408
	s_waitcnt lgkmcnt(7)
	ds_load_u16_d16_hi v174, v164 offset:1920
	s_waitcnt lgkmcnt(7)
	ds_load_u16_d16_hi v175, v164 offset:2432
	s_waitcnt lgkmcnt(7)
	ds_load_u16_d16_hi v176, v164 offset:2944
	s_waitcnt lgkmcnt(7)
	ds_load_u16_d16_hi v177, v164 offset:3456
	s_waitcnt lgkmcnt(7)
	ds_load_u16_d16_hi v178, v164 offset:3968
	;; [unrolled: 28-line block ×5, first 2 shown]
	.loc	1 46 37                         ; attention_fwd.py:46:37
	s_waitcnt lgkmcnt(0)
	v_wmma_f32_16x16x16_f16 v[56:63], v[171:178], v[128:135], v[56:63]
	.loc	1 46 27 is_stmt 0               ; attention_fwd.py:46:27
	v_cvt_f16_f32_e64 v128, v160
	v_cvt_f16_f32_e64 v129, v249
	;; [unrolled: 1-line block ×3, first 2 shown]
	.loc	1 45 20 is_stmt 1               ; attention_fwd.py:45:20
	ds_load_u16 v176, v164 offset:6656
	ds_load_u16 v177, v164 offset:7168
	;; [unrolled: 1-line block ×8, first 2 shown]
	.loc	1 46 27                         ; attention_fwd.py:46:27
	v_cvt_f16_f32_e64 v133, v253
	v_cvt_f16_f32_e64 v135, v162
	v_pack_b32_f16 v129, v128, v129
	.loc	1 45 20                         ; attention_fwd.py:45:20
	s_waitcnt lgkmcnt(7)
	ds_load_u16_d16_hi v176, v164 offset:6912
	s_waitcnt lgkmcnt(7)
	ds_load_u16_d16_hi v177, v164 offset:7424
	;; [unrolled: 2-line block ×8, first 2 shown]
	.loc	1 46 27                         ; attention_fwd.py:46:27
	v_permlanex16_b32 v130, v129, s98, 0xfedcba98 op_sel:[1,0]
	s_delay_alu instid0(VALU_DEP_1) | instskip(SKIP_2) | instid1(VALU_DEP_1)
	v_perm_b32 v128, v130, v129, v158
	v_perm_b32 v129, v130, v129, v159
	v_cvt_f16_f32_e64 v130, v250
	v_pack_b32_f16 v131, v130, v131
	s_delay_alu instid0(VALU_DEP_1) | instskip(NEXT) | instid1(VALU_DEP_1)
	v_permlanex16_b32 v132, v131, s98, 0xfedcba98 op_sel:[1,0]
	v_perm_b32 v130, v132, v131, v158
	v_perm_b32 v131, v132, v131, v159
	v_cvt_f16_f32_e64 v132, v252
	s_delay_alu instid0(VALU_DEP_1) | instskip(NEXT) | instid1(VALU_DEP_1)
	v_pack_b32_f16 v133, v132, v133
	v_permlanex16_b32 v134, v133, s98, 0xfedcba98 op_sel:[1,0]
	s_delay_alu instid0(VALU_DEP_1) | instskip(SKIP_2) | instid1(VALU_DEP_1)
	v_perm_b32 v132, v134, v133, v158
	v_perm_b32 v133, v134, v133, v159
	v_cvt_f16_f32_e64 v134, v254
	v_pack_b32_f16 v135, v134, v135
	s_delay_alu instid0(VALU_DEP_1) | instskip(NEXT) | instid1(VALU_DEP_1)
	v_permlanex16_b32 v160, v135, s98, 0xfedcba98 op_sel:[1,0]
	v_perm_b32 v134, v160, v135, v158
	v_perm_b32 v135, v160, v135, v159
	.loc	1 46 37 is_stmt 0               ; attention_fwd.py:46:37
	s_waitcnt lgkmcnt(0)
	s_delay_alu instid0(VALU_DEP_1)
	v_wmma_f32_16x16x16_f16 v[0:7], v[171:178], v[128:135], v[0:7]
	.loc	1 45 20 is_stmt 1               ; attention_fwd.py:45:20
	ds_load_u16 v176, v164 offset:6688
	ds_load_u16 v177, v164 offset:7200
	ds_load_u16 v178, v164 offset:7712
	ds_load_u16 v171, v164 offset:4128
	ds_load_u16 v172, v164 offset:4640
	ds_load_u16 v173, v164 offset:5152
	ds_load_u16 v174, v164 offset:5664
	ds_load_u16 v175, v164 offset:6176
	s_waitcnt lgkmcnt(7)
	ds_load_u16_d16_hi v176, v164 offset:6944
	s_waitcnt lgkmcnt(7)
	ds_load_u16_d16_hi v177, v164 offset:7456
	s_waitcnt lgkmcnt(7)
	ds_load_u16_d16_hi v178, v164 offset:7968
	s_waitcnt lgkmcnt(7)
	ds_load_u16_d16_hi v171, v164 offset:4384
	s_waitcnt lgkmcnt(7)
	ds_load_u16_d16_hi v172, v164 offset:4896
	s_waitcnt lgkmcnt(7)
	ds_load_u16_d16_hi v173, v164 offset:5408
	s_waitcnt lgkmcnt(7)
	ds_load_u16_d16_hi v174, v164 offset:5920
	s_waitcnt lgkmcnt(7)
	ds_load_u16_d16_hi v175, v164 offset:6432
	.loc	1 46 37                         ; attention_fwd.py:46:37
	s_waitcnt lgkmcnt(0)
	v_wmma_f32_16x16x16_f16 v[8:15], v[171:178], v[128:135], v[8:15]
	.loc	1 45 20                         ; attention_fwd.py:45:20
	ds_load_u16 v176, v164 offset:6720
	ds_load_u16 v177, v164 offset:7232
	ds_load_u16 v178, v164 offset:7744
	ds_load_u16 v171, v164 offset:4160
	ds_load_u16 v172, v164 offset:4672
	ds_load_u16 v173, v164 offset:5184
	ds_load_u16 v174, v164 offset:5696
	ds_load_u16 v175, v164 offset:6208
	s_waitcnt lgkmcnt(7)
	ds_load_u16_d16_hi v176, v164 offset:6976
	s_waitcnt lgkmcnt(7)
	ds_load_u16_d16_hi v177, v164 offset:7488
	s_waitcnt lgkmcnt(7)
	ds_load_u16_d16_hi v178, v164 offset:8000
	s_waitcnt lgkmcnt(7)
	ds_load_u16_d16_hi v171, v164 offset:4416
	s_waitcnt lgkmcnt(7)
	ds_load_u16_d16_hi v172, v164 offset:4928
	s_waitcnt lgkmcnt(7)
	ds_load_u16_d16_hi v173, v164 offset:5440
	s_waitcnt lgkmcnt(7)
	ds_load_u16_d16_hi v174, v164 offset:5952
	s_waitcnt lgkmcnt(7)
	ds_load_u16_d16_hi v175, v164 offset:6464
	.loc	1 46 37                         ; attention_fwd.py:46:37
	s_waitcnt lgkmcnt(0)
	v_wmma_f32_16x16x16_f16 v[16:23], v[171:178], v[128:135], v[16:23]
	.loc	1 45 20                         ; attention_fwd.py:45:20
	ds_load_u16 v171, v164 offset:4192
	ds_load_u16 v172, v164 offset:4704
	ds_load_u16 v173, v164 offset:5216
	ds_load_u16 v174, v164 offset:5728
	ds_load_u16 v175, v164 offset:6240
	ds_load_u16 v176, v164 offset:6752
	ds_load_u16 v177, v164 offset:7264
	ds_load_u16 v178, v164 offset:7776
	s_waitcnt lgkmcnt(7)
	ds_load_u16_d16_hi v171, v164 offset:4448
	s_waitcnt lgkmcnt(7)
	ds_load_u16_d16_hi v172, v164 offset:4960
	s_waitcnt lgkmcnt(7)
	ds_load_u16_d16_hi v173, v164 offset:5472
	s_waitcnt lgkmcnt(7)
	ds_load_u16_d16_hi v174, v164 offset:5984
	s_waitcnt lgkmcnt(7)
	ds_load_u16_d16_hi v175, v164 offset:6496
	s_waitcnt lgkmcnt(7)
	ds_load_u16_d16_hi v176, v164 offset:7008
	s_waitcnt lgkmcnt(7)
	ds_load_u16_d16_hi v177, v164 offset:7520
	s_waitcnt lgkmcnt(7)
	ds_load_u16_d16_hi v178, v164 offset:8032
	.loc	1 46 37                         ; attention_fwd.py:46:37
	s_waitcnt lgkmcnt(0)
	v_wmma_f32_16x16x16_f16 v[24:31], v[171:178], v[128:135], v[24:31]
	.loc	1 45 20                         ; attention_fwd.py:45:20
	ds_load_u16 v171, v164 offset:4224
	ds_load_u16 v172, v164 offset:4736
	ds_load_u16 v173, v164 offset:5248
	ds_load_u16 v174, v164 offset:5760
	ds_load_u16 v175, v164 offset:6272
	ds_load_u16 v176, v164 offset:6784
	ds_load_u16 v177, v164 offset:7296
	ds_load_u16 v178, v164 offset:7808
	s_waitcnt lgkmcnt(7)
	ds_load_u16_d16_hi v171, v164 offset:4480
	s_waitcnt lgkmcnt(7)
	ds_load_u16_d16_hi v172, v164 offset:4992
	s_waitcnt lgkmcnt(7)
	ds_load_u16_d16_hi v173, v164 offset:5504
	s_waitcnt lgkmcnt(7)
	ds_load_u16_d16_hi v174, v164 offset:6016
	s_waitcnt lgkmcnt(7)
	ds_load_u16_d16_hi v175, v164 offset:6528
	s_waitcnt lgkmcnt(7)
	ds_load_u16_d16_hi v176, v164 offset:7040
	s_waitcnt lgkmcnt(7)
	ds_load_u16_d16_hi v177, v164 offset:7552
	s_waitcnt lgkmcnt(7)
	ds_load_u16_d16_hi v178, v164 offset:8064
	.loc	1 46 37                         ; attention_fwd.py:46:37
	s_waitcnt lgkmcnt(0)
	v_wmma_f32_16x16x16_f16 v[32:39], v[171:178], v[128:135], v[32:39]
	.loc	1 45 20                         ; attention_fwd.py:45:20
	ds_load_u16 v171, v164 offset:4256
	ds_load_u16 v172, v164 offset:4768
	ds_load_u16 v173, v164 offset:5280
	ds_load_u16 v174, v164 offset:5792
	ds_load_u16 v175, v164 offset:6304
	ds_load_u16 v176, v164 offset:6816
	ds_load_u16 v177, v164 offset:7328
	ds_load_u16 v178, v164 offset:7840
	s_waitcnt lgkmcnt(7)
	ds_load_u16_d16_hi v171, v164 offset:4512
	s_waitcnt lgkmcnt(7)
	ds_load_u16_d16_hi v172, v164 offset:5024
	s_waitcnt lgkmcnt(7)
	ds_load_u16_d16_hi v173, v164 offset:5536
	s_waitcnt lgkmcnt(7)
	ds_load_u16_d16_hi v174, v164 offset:6048
	s_waitcnt lgkmcnt(7)
	ds_load_u16_d16_hi v175, v164 offset:6560
	s_waitcnt lgkmcnt(7)
	ds_load_u16_d16_hi v176, v164 offset:7072
	s_waitcnt lgkmcnt(7)
	ds_load_u16_d16_hi v177, v164 offset:7584
	s_waitcnt lgkmcnt(7)
	ds_load_u16_d16_hi v178, v164 offset:8096
	.loc	1 46 37                         ; attention_fwd.py:46:37
	s_waitcnt lgkmcnt(0)
	v_wmma_f32_16x16x16_f16 v[40:47], v[171:178], v[128:135], v[40:47]
	.loc	1 45 20                         ; attention_fwd.py:45:20
	ds_load_u16 v171, v164 offset:4288
	ds_load_u16 v172, v164 offset:4800
	ds_load_u16 v173, v164 offset:5312
	ds_load_u16 v174, v164 offset:5824
	ds_load_u16 v175, v164 offset:6336
	ds_load_u16 v176, v164 offset:6848
	ds_load_u16 v177, v164 offset:7360
	ds_load_u16 v178, v164 offset:7872
	s_waitcnt lgkmcnt(7)
	ds_load_u16_d16_hi v171, v164 offset:4544
	s_waitcnt lgkmcnt(7)
	ds_load_u16_d16_hi v172, v164 offset:5056
	s_waitcnt lgkmcnt(7)
	ds_load_u16_d16_hi v173, v164 offset:5568
	s_waitcnt lgkmcnt(7)
	ds_load_u16_d16_hi v174, v164 offset:6080
	s_waitcnt lgkmcnt(7)
	ds_load_u16_d16_hi v175, v164 offset:6592
	s_waitcnt lgkmcnt(7)
	ds_load_u16_d16_hi v176, v164 offset:7104
	s_waitcnt lgkmcnt(7)
	ds_load_u16_d16_hi v177, v164 offset:7616
	s_waitcnt lgkmcnt(7)
	ds_load_u16_d16_hi v178, v164 offset:8128
	.loc	1 46 37                         ; attention_fwd.py:46:37
	s_waitcnt lgkmcnt(0)
	v_wmma_f32_16x16x16_f16 v[48:55], v[171:178], v[128:135], v[48:55]
	.loc	1 45 20                         ; attention_fwd.py:45:20
	ds_load_u16 v171, v164 offset:4320
	ds_load_u16 v172, v164 offset:4832
	;; [unrolled: 1-line block ×8, first 2 shown]
	s_waitcnt lgkmcnt(7)
	ds_load_u16_d16_hi v171, v164 offset:4576
	s_waitcnt lgkmcnt(7)
	ds_load_u16_d16_hi v172, v164 offset:5088
	;; [unrolled: 2-line block ×8, first 2 shown]
	.loc	1 46 37                         ; attention_fwd.py:46:37
	s_waitcnt lgkmcnt(0)
	v_wmma_f32_16x16x16_f16 v[56:63], v[171:178], v[128:135], v[56:63]
	.loc	1 46 27 is_stmt 0               ; attention_fwd.py:46:27
	v_cvt_f16_f32_e64 v128, v145
	v_cvt_f16_f32_e64 v129, v146
	;; [unrolled: 1-line block ×3, first 2 shown]
	.loc	1 45 20 is_stmt 1               ; attention_fwd.py:45:20
	ds_load_u16 v176, v164 offset:10752
	ds_load_u16 v177, v164 offset:11264
	;; [unrolled: 1-line block ×8, first 2 shown]
	.loc	1 46 27                         ; attention_fwd.py:46:27
	v_cvt_f16_f32_e64 v133, v150
	v_cvt_f16_f32_e64 v135, v168
	v_pack_b32_f16 v129, v128, v129
	.loc	1 45 20                         ; attention_fwd.py:45:20
	s_waitcnt lgkmcnt(7)
	ds_load_u16_d16_hi v176, v164 offset:11008
	s_waitcnt lgkmcnt(7)
	ds_load_u16_d16_hi v177, v164 offset:11520
	;; [unrolled: 2-line block ×8, first 2 shown]
	.loc	1 46 27                         ; attention_fwd.py:46:27
	v_permlanex16_b32 v130, v129, s98, 0xfedcba98 op_sel:[1,0]
	v_mov_b32_e32 v150, v157
	s_delay_alu instid0(VALU_DEP_2) | instskip(SKIP_2) | instid1(VALU_DEP_1)
	v_perm_b32 v128, v130, v129, v158
	v_perm_b32 v129, v130, v129, v159
	v_cvt_f16_f32_e64 v130, v147
	v_pack_b32_f16 v131, v130, v131
	s_delay_alu instid0(VALU_DEP_1) | instskip(NEXT) | instid1(VALU_DEP_1)
	v_permlanex16_b32 v132, v131, s98, 0xfedcba98 op_sel:[1,0]
	v_perm_b32 v130, v132, v131, v158
	v_perm_b32 v131, v132, v131, v159
	v_cvt_f16_f32_e64 v132, v149
	s_delay_alu instid0(VALU_DEP_1) | instskip(NEXT) | instid1(VALU_DEP_1)
	v_pack_b32_f16 v133, v132, v133
	v_permlanex16_b32 v134, v133, s98, 0xfedcba98 op_sel:[1,0]
	s_delay_alu instid0(VALU_DEP_1) | instskip(SKIP_2) | instid1(VALU_DEP_1)
	v_perm_b32 v132, v134, v133, v158
	v_perm_b32 v133, v134, v133, v159
	v_cvt_f16_f32_e64 v134, v151
	v_pack_b32_f16 v135, v134, v135
	s_delay_alu instid0(VALU_DEP_1) | instskip(NEXT) | instid1(VALU_DEP_1)
	v_permlanex16_b32 v145, v135, s98, 0xfedcba98 op_sel:[1,0]
	v_perm_b32 v134, v145, v135, v158
	v_perm_b32 v135, v145, v135, v159
	.loc	1 46 37 is_stmt 0               ; attention_fwd.py:46:37
	s_waitcnt lgkmcnt(0)
	s_delay_alu instid0(VALU_DEP_1)
	v_wmma_f32_16x16x16_f16 v[0:7], v[171:178], v[128:135], v[0:7]
	.loc	1 45 20 is_stmt 1               ; attention_fwd.py:45:20
	ds_load_u16 v176, v164 offset:10784
	ds_load_u16 v177, v164 offset:11296
	ds_load_u16 v178, v164 offset:11808
	ds_load_u16 v171, v164 offset:8224
	ds_load_u16 v172, v164 offset:8736
	ds_load_u16 v173, v164 offset:9248
	ds_load_u16 v174, v164 offset:9760
	ds_load_u16 v175, v164 offset:10272
	s_waitcnt lgkmcnt(7)
	ds_load_u16_d16_hi v176, v164 offset:11040
	s_waitcnt lgkmcnt(7)
	ds_load_u16_d16_hi v177, v164 offset:11552
	s_waitcnt lgkmcnt(7)
	ds_load_u16_d16_hi v178, v164 offset:12064
	s_waitcnt lgkmcnt(7)
	ds_load_u16_d16_hi v171, v164 offset:8480
	s_waitcnt lgkmcnt(7)
	ds_load_u16_d16_hi v172, v164 offset:8992
	s_waitcnt lgkmcnt(7)
	ds_load_u16_d16_hi v173, v164 offset:9504
	s_waitcnt lgkmcnt(7)
	ds_load_u16_d16_hi v174, v164 offset:10016
	s_waitcnt lgkmcnt(7)
	ds_load_u16_d16_hi v175, v164 offset:10528
	.loc	1 46 37                         ; attention_fwd.py:46:37
	s_waitcnt lgkmcnt(0)
	v_wmma_f32_16x16x16_f16 v[8:15], v[171:178], v[128:135], v[8:15]
	.loc	1 45 20                         ; attention_fwd.py:45:20
	ds_load_u16 v176, v164 offset:10816
	ds_load_u16 v177, v164 offset:11328
	ds_load_u16 v178, v164 offset:11840
	ds_load_u16 v171, v164 offset:8256
	ds_load_u16 v172, v164 offset:8768
	ds_load_u16 v173, v164 offset:9280
	ds_load_u16 v174, v164 offset:9792
	ds_load_u16 v175, v164 offset:10304
	s_waitcnt lgkmcnt(7)
	ds_load_u16_d16_hi v176, v164 offset:11072
	s_waitcnt lgkmcnt(7)
	ds_load_u16_d16_hi v177, v164 offset:11584
	s_waitcnt lgkmcnt(7)
	ds_load_u16_d16_hi v178, v164 offset:12096
	s_waitcnt lgkmcnt(7)
	ds_load_u16_d16_hi v171, v164 offset:8512
	s_waitcnt lgkmcnt(7)
	ds_load_u16_d16_hi v172, v164 offset:9024
	s_waitcnt lgkmcnt(7)
	ds_load_u16_d16_hi v173, v164 offset:9536
	s_waitcnt lgkmcnt(7)
	ds_load_u16_d16_hi v174, v164 offset:10048
	s_waitcnt lgkmcnt(7)
	ds_load_u16_d16_hi v175, v164 offset:10560
	.loc	1 46 37                         ; attention_fwd.py:46:37
	s_waitcnt lgkmcnt(0)
	v_wmma_f32_16x16x16_f16 v[16:23], v[171:178], v[128:135], v[16:23]
	.loc	1 45 20                         ; attention_fwd.py:45:20
	ds_load_u16 v171, v164 offset:8288
	ds_load_u16 v172, v164 offset:8800
	ds_load_u16 v173, v164 offset:9312
	ds_load_u16 v174, v164 offset:9824
	ds_load_u16 v175, v164 offset:10336
	ds_load_u16 v176, v164 offset:10848
	ds_load_u16 v177, v164 offset:11360
	ds_load_u16 v178, v164 offset:11872
	s_waitcnt lgkmcnt(7)
	ds_load_u16_d16_hi v171, v164 offset:8544
	s_waitcnt lgkmcnt(7)
	ds_load_u16_d16_hi v172, v164 offset:9056
	s_waitcnt lgkmcnt(7)
	ds_load_u16_d16_hi v173, v164 offset:9568
	s_waitcnt lgkmcnt(7)
	ds_load_u16_d16_hi v174, v164 offset:10080
	s_waitcnt lgkmcnt(7)
	ds_load_u16_d16_hi v175, v164 offset:10592
	s_waitcnt lgkmcnt(7)
	ds_load_u16_d16_hi v176, v164 offset:11104
	s_waitcnt lgkmcnt(7)
	ds_load_u16_d16_hi v177, v164 offset:11616
	s_waitcnt lgkmcnt(7)
	ds_load_u16_d16_hi v178, v164 offset:12128
	.loc	1 46 37                         ; attention_fwd.py:46:37
	s_waitcnt lgkmcnt(0)
	v_wmma_f32_16x16x16_f16 v[24:31], v[171:178], v[128:135], v[24:31]
	.loc	1 45 20                         ; attention_fwd.py:45:20
	ds_load_u16 v171, v164 offset:8320
	ds_load_u16 v172, v164 offset:8832
	ds_load_u16 v173, v164 offset:9344
	ds_load_u16 v174, v164 offset:9856
	ds_load_u16 v175, v164 offset:10368
	ds_load_u16 v176, v164 offset:10880
	ds_load_u16 v177, v164 offset:11392
	ds_load_u16 v178, v164 offset:11904
	s_waitcnt lgkmcnt(7)
	ds_load_u16_d16_hi v171, v164 offset:8576
	s_waitcnt lgkmcnt(7)
	ds_load_u16_d16_hi v172, v164 offset:9088
	s_waitcnt lgkmcnt(7)
	ds_load_u16_d16_hi v173, v164 offset:9600
	s_waitcnt lgkmcnt(7)
	ds_load_u16_d16_hi v174, v164 offset:10112
	s_waitcnt lgkmcnt(7)
	ds_load_u16_d16_hi v175, v164 offset:10624
	s_waitcnt lgkmcnt(7)
	ds_load_u16_d16_hi v176, v164 offset:11136
	s_waitcnt lgkmcnt(7)
	ds_load_u16_d16_hi v177, v164 offset:11648
	s_waitcnt lgkmcnt(7)
	ds_load_u16_d16_hi v178, v164 offset:12160
	.loc	1 46 37                         ; attention_fwd.py:46:37
	s_waitcnt lgkmcnt(0)
	v_wmma_f32_16x16x16_f16 v[32:39], v[171:178], v[128:135], v[32:39]
	.loc	1 45 20                         ; attention_fwd.py:45:20
	ds_load_u16 v171, v164 offset:8352
	ds_load_u16 v172, v164 offset:8864
	ds_load_u16 v173, v164 offset:9376
	ds_load_u16 v174, v164 offset:9888
	ds_load_u16 v175, v164 offset:10400
	ds_load_u16 v176, v164 offset:10912
	ds_load_u16 v177, v164 offset:11424
	ds_load_u16 v178, v164 offset:11936
	s_waitcnt lgkmcnt(7)
	ds_load_u16_d16_hi v171, v164 offset:8608
	s_waitcnt lgkmcnt(7)
	ds_load_u16_d16_hi v172, v164 offset:9120
	s_waitcnt lgkmcnt(7)
	ds_load_u16_d16_hi v173, v164 offset:9632
	s_waitcnt lgkmcnt(7)
	ds_load_u16_d16_hi v174, v164 offset:10144
	s_waitcnt lgkmcnt(7)
	ds_load_u16_d16_hi v175, v164 offset:10656
	s_waitcnt lgkmcnt(7)
	ds_load_u16_d16_hi v176, v164 offset:11168
	s_waitcnt lgkmcnt(7)
	ds_load_u16_d16_hi v177, v164 offset:11680
	s_waitcnt lgkmcnt(7)
	ds_load_u16_d16_hi v178, v164 offset:12192
	.loc	1 46 37                         ; attention_fwd.py:46:37
	s_waitcnt lgkmcnt(0)
	v_wmma_f32_16x16x16_f16 v[40:47], v[171:178], v[128:135], v[40:47]
	.loc	1 45 20                         ; attention_fwd.py:45:20
	ds_load_u16 v171, v164 offset:8384
	ds_load_u16 v172, v164 offset:8896
	ds_load_u16 v173, v164 offset:9408
	ds_load_u16 v174, v164 offset:9920
	ds_load_u16 v175, v164 offset:10432
	ds_load_u16 v176, v164 offset:10944
	ds_load_u16 v177, v164 offset:11456
	ds_load_u16 v178, v164 offset:11968
	s_waitcnt lgkmcnt(7)
	ds_load_u16_d16_hi v171, v164 offset:8640
	s_waitcnt lgkmcnt(7)
	ds_load_u16_d16_hi v172, v164 offset:9152
	s_waitcnt lgkmcnt(7)
	ds_load_u16_d16_hi v173, v164 offset:9664
	s_waitcnt lgkmcnt(7)
	ds_load_u16_d16_hi v174, v164 offset:10176
	s_waitcnt lgkmcnt(7)
	ds_load_u16_d16_hi v175, v164 offset:10688
	s_waitcnt lgkmcnt(7)
	ds_load_u16_d16_hi v176, v164 offset:11200
	s_waitcnt lgkmcnt(7)
	ds_load_u16_d16_hi v177, v164 offset:11712
	s_waitcnt lgkmcnt(7)
	ds_load_u16_d16_hi v178, v164 offset:12224
	.loc	1 46 37                         ; attention_fwd.py:46:37
	s_waitcnt lgkmcnt(0)
	v_wmma_f32_16x16x16_f16 v[48:55], v[171:178], v[128:135], v[48:55]
	.loc	1 45 20                         ; attention_fwd.py:45:20
	ds_load_u16 v171, v164 offset:8416
	ds_load_u16 v172, v164 offset:8928
	;; [unrolled: 1-line block ×8, first 2 shown]
	s_waitcnt lgkmcnt(7)
	ds_load_u16_d16_hi v171, v164 offset:8672
	s_waitcnt lgkmcnt(7)
	ds_load_u16_d16_hi v172, v164 offset:9184
	;; [unrolled: 2-line block ×8, first 2 shown]
	.loc	1 46 37                         ; attention_fwd.py:46:37
	s_waitcnt lgkmcnt(0)
	v_wmma_f32_16x16x16_f16 v[56:63], v[171:178], v[128:135], v[56:63]
	.loc	1 46 27 is_stmt 0               ; attention_fwd.py:46:27
	v_cvt_f16_f32_e64 v128, v212
	v_cvt_f16_f32_e64 v129, v214
	;; [unrolled: 1-line block ×3, first 2 shown]
	.loc	1 45 20 is_stmt 1               ; attention_fwd.py:45:20
	ds_load_u16 v171, v164 offset:12288
	ds_load_u16 v172, v164 offset:12800
	;; [unrolled: 1-line block ×8, first 2 shown]
	.loc	1 46 27                         ; attention_fwd.py:46:27
	v_cvt_f16_f32_e64 v133, v221
	v_cvt_f16_f32_e64 v135, v222
	v_pack_b32_f16 v129, v128, v129
	.loc	1 45 20                         ; attention_fwd.py:45:20
	s_waitcnt lgkmcnt(7)
	ds_load_u16_d16_hi v171, v164 offset:12544
	s_waitcnt lgkmcnt(7)
	ds_load_u16_d16_hi v172, v164 offset:13056
	;; [unrolled: 2-line block ×8, first 2 shown]
	.loc	1 46 27                         ; attention_fwd.py:46:27
	v_permlanex16_b32 v130, v129, s98, 0xfedcba98 op_sel:[1,0]
	v_mov_b32_e32 v212, v156
	s_delay_alu instid0(VALU_DEP_2) | instskip(SKIP_2) | instid1(VALU_DEP_1)
	v_perm_b32 v128, v130, v129, v158
	v_perm_b32 v129, v130, v129, v159
	v_cvt_f16_f32_e64 v130, v213
	v_pack_b32_f16 v131, v130, v131
	s_delay_alu instid0(VALU_DEP_1) | instskip(NEXT) | instid1(VALU_DEP_1)
	v_permlanex16_b32 v132, v131, s98, 0xfedcba98 op_sel:[1,0]
	v_perm_b32 v130, v132, v131, v158
	v_perm_b32 v131, v132, v131, v159
	v_cvt_f16_f32_e64 v132, v218
	s_delay_alu instid0(VALU_DEP_1) | instskip(NEXT) | instid1(VALU_DEP_1)
	v_pack_b32_f16 v133, v132, v133
	v_permlanex16_b32 v134, v133, s98, 0xfedcba98 op_sel:[1,0]
	s_delay_alu instid0(VALU_DEP_1) | instskip(SKIP_2) | instid1(VALU_DEP_1)
	v_perm_b32 v132, v134, v133, v158
	v_perm_b32 v133, v134, v133, v159
	v_cvt_f16_f32_e64 v134, v220
	v_pack_b32_f16 v135, v134, v135
	s_delay_alu instid0(VALU_DEP_1) | instskip(NEXT) | instid1(VALU_DEP_1)
	v_permlanex16_b32 v145, v135, s98, 0xfedcba98 op_sel:[1,0]
	v_perm_b32 v134, v145, v135, v158
	v_perm_b32 v135, v145, v135, v159
	.loc	1 46 37 is_stmt 0               ; attention_fwd.py:46:37
	s_waitcnt lgkmcnt(0)
	s_delay_alu instid0(VALU_DEP_1)
	v_wmma_f32_16x16x16_f16 v[0:7], v[171:178], v[128:135], v[0:7]
	.loc	1 45 20 is_stmt 1               ; attention_fwd.py:45:20
	ds_load_u16 v171, v164 offset:12320
	ds_load_u16 v172, v164 offset:12832
	ds_load_u16 v173, v164 offset:13344
	ds_load_u16 v174, v164 offset:13856
	ds_load_u16 v175, v164 offset:14368
	ds_load_u16 v176, v164 offset:14880
	ds_load_u16 v177, v164 offset:15392
	ds_load_u16 v178, v164 offset:15904
	s_waitcnt lgkmcnt(7)
	ds_load_u16_d16_hi v171, v164 offset:12576
	s_waitcnt lgkmcnt(7)
	ds_load_u16_d16_hi v172, v164 offset:13088
	s_waitcnt lgkmcnt(7)
	ds_load_u16_d16_hi v173, v164 offset:13600
	s_waitcnt lgkmcnt(7)
	ds_load_u16_d16_hi v174, v164 offset:14112
	s_waitcnt lgkmcnt(7)
	ds_load_u16_d16_hi v175, v164 offset:14624
	s_waitcnt lgkmcnt(7)
	ds_load_u16_d16_hi v176, v164 offset:15136
	s_waitcnt lgkmcnt(7)
	ds_load_u16_d16_hi v177, v164 offset:15648
	s_waitcnt lgkmcnt(7)
	ds_load_u16_d16_hi v178, v164 offset:16160
	.loc	1 46 37                         ; attention_fwd.py:46:37
	s_waitcnt lgkmcnt(0)
	v_wmma_f32_16x16x16_f16 v[8:15], v[171:178], v[128:135], v[8:15]
	.loc	1 45 20                         ; attention_fwd.py:45:20
	ds_load_u16 v171, v164 offset:12352
	ds_load_u16 v172, v164 offset:12864
	ds_load_u16 v173, v164 offset:13376
	ds_load_u16 v174, v164 offset:13888
	ds_load_u16 v175, v164 offset:14400
	ds_load_u16 v176, v164 offset:14912
	ds_load_u16 v177, v164 offset:15424
	ds_load_u16 v178, v164 offset:15936
	s_waitcnt lgkmcnt(7)
	ds_load_u16_d16_hi v171, v164 offset:12608
	s_waitcnt lgkmcnt(7)
	ds_load_u16_d16_hi v172, v164 offset:13120
	s_waitcnt lgkmcnt(7)
	ds_load_u16_d16_hi v173, v164 offset:13632
	s_waitcnt lgkmcnt(7)
	ds_load_u16_d16_hi v174, v164 offset:14144
	s_waitcnt lgkmcnt(7)
	ds_load_u16_d16_hi v175, v164 offset:14656
	s_waitcnt lgkmcnt(7)
	ds_load_u16_d16_hi v176, v164 offset:15168
	s_waitcnt lgkmcnt(7)
	ds_load_u16_d16_hi v177, v164 offset:15680
	s_waitcnt lgkmcnt(7)
	ds_load_u16_d16_hi v178, v164 offset:16192
	.loc	1 46 37                         ; attention_fwd.py:46:37
	s_waitcnt lgkmcnt(0)
	v_wmma_f32_16x16x16_f16 v[16:23], v[171:178], v[128:135], v[16:23]
	.loc	1 45 20                         ; attention_fwd.py:45:20
	;; [unrolled: 28-line block ×7, first 2 shown]
	s_waitcnt vmcnt(0)
	s_barrier
	buffer_gl0_inv
	scratch_load_b32 v128, off, off offset:84 ; 4-byte Folded Reload
	ds_store_b16 v143, v193
	ds_store_b16 v143, v196 offset:512
	ds_store_b16 v143, v195 offset:1024
	ds_store_b16 v143, v198 offset:2048
	ds_store_b16 v143, v200 offset:2560
	ds_store_b16 v143, v199 offset:3072
	ds_store_b16 v143, v203 offset:4096
	ds_store_b16 v143, v205 offset:4608
	ds_store_b16 v143, v204 offset:5120
	ds_store_b16 v143, v207 offset:6144
	ds_store_b16 v143, v209 offset:6656
	ds_store_b16 v143, v208 offset:7168
	ds_store_b16 v143, v211 offset:8192
	ds_store_b16 v143, v217 offset:8704
	ds_store_b16 v143, v215 offset:9216
	ds_store_b16 v143, v223 offset:10240
	ds_store_b16 v143, v225 offset:10752
	ds_store_b16 v143, v224 offset:11264
	ds_store_b16 v143, v227 offset:12288
	ds_store_b16 v143, v229 offset:12800
	ds_store_b16 v143, v228 offset:13312
	ds_store_b16 v143, v231 offset:14336
	ds_store_b16 v143, v161 offset:14848
	ds_store_b16 v143, v232 offset:15360
	v_mov_b32_e32 v195, v156
	v_mov_b32_e32 v211, v157
	s_clause 0x11                           ; 72-byte Folded Reload
	scratch_load_b32 v156, off, off offset:68
	scratch_load_b32 v157, off, off offset:72
	;; [unrolled: 1-line block ×17, first 2 shown]
	scratch_load_b32 v167, off, off
	v_dual_mov_b32 v204, v190 :: v_dual_mov_b32 v205, v191
	v_dual_mov_b32 v200, v189 :: v_dual_mov_b32 v203, v186
	;; [unrolled: 1-line block ×3, first 2 shown]
	v_mov_b32_e32 v196, v183
	s_waitcnt vmcnt(18)
	ds_store_b16 v128, v197
	scratch_load_b32 v128, off, off offset:88 ; 4-byte Folded Reload
	s_waitcnt vmcnt(17)
	v_dual_mov_b32 v197, v136 :: v_dual_mov_b32 v148, v157
	s_waitcnt vmcnt(15)
	v_dual_mov_b32 v149, v209 :: v_dual_mov_b32 v168, v207
	;; [unrolled: 2-line block ×7, first 2 shown]
	s_waitcnt vmcnt(3)
	v_mov_b32_e32 v131, v171
	s_waitcnt vmcnt(1)
	v_mov_b32_e32 v129, v167
	s_waitcnt vmcnt(0)
	ds_store_b16 v128, v202
	scratch_load_b32 v128, off, off offset:92 ; 4-byte Folded Reload
	v_mov_b32_e32 v202, v192
	s_waitcnt vmcnt(0)
	ds_store_b16 v128, v206
	scratch_load_b32 v128, off, off offset:96 ; 4-byte Folded Reload
	v_mov_b32_e32 v206, v188
	s_waitcnt vmcnt(0)
	ds_store_b16 v128, v210
	s_clause 0x1                            ; 8-byte Folded Reload
	scratch_load_b32 v128, off, off offset:100
	scratch_load_b32 v210, off, off offset:64
	v_mov_b32_e32 v151, v156
	s_waitcnt vmcnt(1)
	ds_store_b16 v128, v219
	scratch_load_b32 v128, off, off offset:104 ; 4-byte Folded Reload
	s_waitcnt vmcnt(1)
	v_mov_b32_e32 v162, v210
	s_waitcnt vmcnt(0)
	ds_store_b16 v128, v226
	scratch_load_b32 v128, off, off offset:108 ; 4-byte Folded Reload
	s_waitcnt vmcnt(0)
	ds_store_b16 v128, v230
	scratch_load_b32 v128, off, off offset:112 ; 4-byte Folded Reload
	s_waitcnt vmcnt(0)
	ds_store_b16 v128, v144
	v_mov_b32_e32 v144, v193
	v_mov_b32_e32 v128, v172
	.loc	1 31 32                         ; attention_fwd.py:31:32
	s_cbranch_scc0 .LBB0_388
.LBB0_259:                              ; =>This Inner Loop Header: Depth=1
	.loc	1 32 27                         ; attention_fwd.py:32:27
	scratch_load_b32 v136, off, off offset:116 ; 4-byte Folded Reload
	s_waitcnt vmcnt(0)
	v_add_nc_u32_e32 v169, vcc_hi, v136
	s_delay_alu instid0(VALU_DEP_1) | instskip(NEXT) | instid1(VALU_DEP_1)
	v_add_nc_u32_e32 v136, 0x80, v169
	.loc	1 34 51                         ; attention_fwd.py:34:51
	v_cmp_gt_i32_e32 vcc_lo, s100, v136
	v_mov_b32_e32 v136, 0
	.loc	1 34 20 is_stmt 0               ; attention_fwd.py:34:20
	scratch_store_b32 off, v136, off        ; 4-byte Folded Spill
	s_and_saveexec_b32 s1, vcc_lo
	s_cbranch_execz .LBB0_261
; %bb.260:                              ;   in Loop: Header=BB0_259 Depth=1
	.loc	1 0 20                          ; attention_fwd.py:0:20
	scratch_load_b32 v136, off, off offset:372 ; 4-byte Folded Reload
	s_waitcnt vmcnt(0)
	v_add_nc_u32_e32 v156, s99, v136
	s_delay_alu instid0(VALU_DEP_1) | instskip(NEXT) | instid1(VALU_DEP_1)
	v_ashrrev_i32_e32 v157, 31, v156
	v_lshlrev_b64 v[156:157], 1, v[156:157]
	s_delay_alu instid0(VALU_DEP_1) | instskip(NEXT) | instid1(VALU_DEP_1)
	v_add_co_u32 v156, s2, v152, v156
	v_add_co_ci_u32_e64 v157, null, v153, v157, s2
	.loc	1 34 20                         ; attention_fwd.py:34:20
	global_load_u16 v136, v[156:157], off
	s_waitcnt vmcnt(0)
	scratch_store_b32 off, v136, off        ; 4-byte Folded Spill
.LBB0_261:                              ;   in Loop: Header=BB0_259 Depth=1
	.loc	1 0 20                          ; attention_fwd.py:0:20
	s_or_b32 exec_lo, exec_lo, s1
	.loc	1 32 27 is_stmt 1               ; attention_fwd.py:32:27
	v_add_nc_u32_e32 v136, 0x82, v169
	v_mov_b32_e32 v156, 0
	s_delay_alu instid0(VALU_DEP_2)
	.loc	1 34 51                         ; attention_fwd.py:34:51
	v_cmp_gt_i32_e64 s2, s100, v136
	v_mov_b32_e32 v136, 0
	s_clause 0x1                            ; 8-byte Folded Spill
	scratch_store_b32 off, v156, off offset:4
	scratch_store_b32 off, v136, off offset:8
	.loc	1 34 20 is_stmt 0               ; attention_fwd.py:34:20
	s_and_saveexec_b32 s1, s2
	s_cbranch_execz .LBB0_263
; %bb.262:                              ;   in Loop: Header=BB0_259 Depth=1
	.loc	1 33 39 is_stmt 1               ; attention_fwd.py:33:39
	scratch_load_b32 v136, off, off offset:364 ; 4-byte Folded Reload
	s_waitcnt vmcnt(0)
	v_add_nc_u32_e32 v156, s99, v136
	s_delay_alu instid0(VALU_DEP_1) | instskip(NEXT) | instid1(VALU_DEP_1)
	.loc	1 33 21 is_stmt 0               ; attention_fwd.py:33:21
	v_ashrrev_i32_e32 v157, 31, v156
	.loc	1 33 51                         ; attention_fwd.py:33:51
	v_lshlrev_b64 v[156:157], 1, v[156:157]
	s_delay_alu instid0(VALU_DEP_1) | instskip(NEXT) | instid1(VALU_DEP_1)
	v_add_co_u32 v156, s3, v152, v156
	v_add_co_ci_u32_e64 v157, null, v153, v157, s3
	.loc	1 34 20 is_stmt 1               ; attention_fwd.py:34:20
	global_load_u16 v136, v[156:157], off
	s_waitcnt vmcnt(0)
	scratch_store_b32 off, v136, off offset:8 ; 4-byte Folded Spill
.LBB0_263:                              ;   in Loop: Header=BB0_259 Depth=1
	.loc	1 0 20 is_stmt 0                ; attention_fwd.py:0:20
	s_or_b32 exec_lo, exec_lo, s1
	.loc	1 32 27 is_stmt 1               ; attention_fwd.py:32:27
	v_add_nc_u32_e32 v136, 0x84, v169
	s_delay_alu instid0(VALU_DEP_1) | instskip(NEXT) | instid1(VALU_DEP_1)
	.loc	1 34 51                         ; attention_fwd.py:34:51
	v_cmp_gt_i32_e64 s0, s100, v136
	v_writelane_b32 v255, s0, 5
	.loc	1 34 20 is_stmt 0               ; attention_fwd.py:34:20
	s_and_saveexec_b32 s1, s0
	s_cbranch_execz .LBB0_265
; %bb.264:                              ;   in Loop: Header=BB0_259 Depth=1
	.loc	1 33 39 is_stmt 1               ; attention_fwd.py:33:39
	scratch_load_b32 v136, off, off offset:356 ; 4-byte Folded Reload
	s_waitcnt vmcnt(0)
	v_add_nc_u32_e32 v156, s99, v136
	s_delay_alu instid0(VALU_DEP_1) | instskip(NEXT) | instid1(VALU_DEP_1)
	.loc	1 33 21 is_stmt 0               ; attention_fwd.py:33:21
	v_ashrrev_i32_e32 v157, 31, v156
	.loc	1 33 51                         ; attention_fwd.py:33:51
	v_lshlrev_b64 v[156:157], 1, v[156:157]
	s_delay_alu instid0(VALU_DEP_1) | instskip(NEXT) | instid1(VALU_DEP_1)
	v_add_co_u32 v156, s4, v152, v156
	v_add_co_ci_u32_e64 v157, null, v153, v157, s4
	.loc	1 34 20 is_stmt 1               ; attention_fwd.py:34:20
	global_load_u16 v136, v[156:157], off
	s_waitcnt vmcnt(0)
	scratch_store_b32 off, v136, off offset:4 ; 4-byte Folded Spill
.LBB0_265:                              ;   in Loop: Header=BB0_259 Depth=1
	.loc	1 0 20 is_stmt 0                ; attention_fwd.py:0:20
	s_or_b32 exec_lo, exec_lo, s1
	.loc	1 32 27 is_stmt 1               ; attention_fwd.py:32:27
	v_add_nc_u32_e32 v136, 0x86, v169
	v_mov_b32_e32 v156, 0
	s_delay_alu instid0(VALU_DEP_2)
	.loc	1 34 51                         ; attention_fwd.py:34:51
	v_cmp_gt_i32_e64 s0, s100, v136
	v_mov_b32_e32 v136, 0
	s_clause 0x1                            ; 8-byte Folded Spill
	scratch_store_b32 off, v156, off offset:12
	scratch_store_b32 off, v136, off offset:16
	.loc	1 34 20 is_stmt 0               ; attention_fwd.py:34:20
	s_and_saveexec_b32 s1, s0
	s_cbranch_execz .LBB0_267
; %bb.266:                              ;   in Loop: Header=BB0_259 Depth=1
	.loc	1 33 39 is_stmt 1               ; attention_fwd.py:33:39
	scratch_load_b32 v136, off, off offset:348 ; 4-byte Folded Reload
	s_waitcnt vmcnt(0)
	v_add_nc_u32_e32 v156, s99, v136
	s_delay_alu instid0(VALU_DEP_1) | instskip(NEXT) | instid1(VALU_DEP_1)
	.loc	1 33 21 is_stmt 0               ; attention_fwd.py:33:21
	v_ashrrev_i32_e32 v157, 31, v156
	.loc	1 33 51                         ; attention_fwd.py:33:51
	v_lshlrev_b64 v[156:157], 1, v[156:157]
	s_delay_alu instid0(VALU_DEP_1) | instskip(NEXT) | instid1(VALU_DEP_1)
	v_add_co_u32 v156, s5, v152, v156
	v_add_co_ci_u32_e64 v157, null, v153, v157, s5
	.loc	1 34 20 is_stmt 1               ; attention_fwd.py:34:20
	global_load_u16 v136, v[156:157], off
	s_waitcnt vmcnt(0)
	scratch_store_b32 off, v136, off offset:16 ; 4-byte Folded Spill
.LBB0_267:                              ;   in Loop: Header=BB0_259 Depth=1
	.loc	1 0 20 is_stmt 0                ; attention_fwd.py:0:20
	s_or_b32 exec_lo, exec_lo, s1
	.loc	1 32 27 is_stmt 1               ; attention_fwd.py:32:27
	v_add_nc_u32_e32 v136, 0x88, v169
	s_delay_alu instid0(VALU_DEP_1)
	.loc	1 34 51                         ; attention_fwd.py:34:51
	v_cmp_gt_i32_e64 s104, s100, v136
	.loc	1 34 20 is_stmt 0               ; attention_fwd.py:34:20
	s_and_saveexec_b32 s1, s104
	s_cbranch_execz .LBB0_269
; %bb.268:                              ;   in Loop: Header=BB0_259 Depth=1
	.loc	1 33 39 is_stmt 1               ; attention_fwd.py:33:39
	scratch_load_b32 v136, off, off offset:340 ; 4-byte Folded Reload
	s_waitcnt vmcnt(0)
	v_add_nc_u32_e32 v156, s99, v136
	s_delay_alu instid0(VALU_DEP_1) | instskip(NEXT) | instid1(VALU_DEP_1)
	.loc	1 33 21 is_stmt 0               ; attention_fwd.py:33:21
	v_ashrrev_i32_e32 v157, 31, v156
	.loc	1 33 51                         ; attention_fwd.py:33:51
	v_lshlrev_b64 v[156:157], 1, v[156:157]
	s_delay_alu instid0(VALU_DEP_1) | instskip(NEXT) | instid1(VALU_DEP_1)
	v_add_co_u32 v156, s6, v152, v156
	v_add_co_ci_u32_e64 v157, null, v153, v157, s6
	.loc	1 34 20 is_stmt 1               ; attention_fwd.py:34:20
	global_load_u16 v136, v[156:157], off
	s_waitcnt vmcnt(0)
	scratch_store_b32 off, v136, off offset:12 ; 4-byte Folded Spill
.LBB0_269:                              ;   in Loop: Header=BB0_259 Depth=1
	.loc	1 0 20 is_stmt 0                ; attention_fwd.py:0:20
	s_or_b32 exec_lo, exec_lo, s1
	.loc	1 32 27 is_stmt 1               ; attention_fwd.py:32:27
	v_add_nc_u32_e32 v136, 0x8a, v169
	v_mov_b32_e32 v156, 0
	s_delay_alu instid0(VALU_DEP_2)
	.loc	1 34 51                         ; attention_fwd.py:34:51
	v_cmp_gt_i32_e64 s101, s100, v136
	v_mov_b32_e32 v136, 0
	s_clause 0x1                            ; 8-byte Folded Spill
	scratch_store_b32 off, v156, off offset:20
	scratch_store_b32 off, v136, off offset:24
	.loc	1 34 20 is_stmt 0               ; attention_fwd.py:34:20
	s_and_saveexec_b32 s1, s101
	s_cbranch_execz .LBB0_271
; %bb.270:                              ;   in Loop: Header=BB0_259 Depth=1
	.loc	1 33 39 is_stmt 1               ; attention_fwd.py:33:39
	scratch_load_b32 v136, off, off offset:332 ; 4-byte Folded Reload
	s_waitcnt vmcnt(0)
	v_add_nc_u32_e32 v156, s99, v136
	s_delay_alu instid0(VALU_DEP_1) | instskip(NEXT) | instid1(VALU_DEP_1)
	.loc	1 33 21 is_stmt 0               ; attention_fwd.py:33:21
	v_ashrrev_i32_e32 v157, 31, v156
	.loc	1 33 51                         ; attention_fwd.py:33:51
	v_lshlrev_b64 v[156:157], 1, v[156:157]
	s_delay_alu instid0(VALU_DEP_1) | instskip(NEXT) | instid1(VALU_DEP_1)
	v_add_co_u32 v156, s7, v152, v156
	v_add_co_ci_u32_e64 v157, null, v153, v157, s7
	.loc	1 34 20 is_stmt 1               ; attention_fwd.py:34:20
	global_load_u16 v136, v[156:157], off
	s_waitcnt vmcnt(0)
	scratch_store_b32 off, v136, off offset:24 ; 4-byte Folded Spill
.LBB0_271:                              ;   in Loop: Header=BB0_259 Depth=1
	.loc	1 0 20 is_stmt 0                ; attention_fwd.py:0:20
	s_or_b32 exec_lo, exec_lo, s1
	.loc	1 32 27 is_stmt 1               ; attention_fwd.py:32:27
	v_add_nc_u32_e32 v136, 0x8c, v169
	s_delay_alu instid0(VALU_DEP_1)
	.loc	1 34 51                         ; attention_fwd.py:34:51
	v_cmp_gt_i32_e64 s3, s100, v136
	.loc	1 34 20 is_stmt 0               ; attention_fwd.py:34:20
	s_and_saveexec_b32 s1, s3
	s_cbranch_execz .LBB0_273
; %bb.272:                              ;   in Loop: Header=BB0_259 Depth=1
	.loc	1 33 39 is_stmt 1               ; attention_fwd.py:33:39
	scratch_load_b32 v136, off, off offset:324 ; 4-byte Folded Reload
	s_waitcnt vmcnt(0)
	v_add_nc_u32_e32 v156, s99, v136
	s_delay_alu instid0(VALU_DEP_1) | instskip(NEXT) | instid1(VALU_DEP_1)
	.loc	1 33 21 is_stmt 0               ; attention_fwd.py:33:21
	v_ashrrev_i32_e32 v157, 31, v156
	.loc	1 33 51                         ; attention_fwd.py:33:51
	v_lshlrev_b64 v[156:157], 1, v[156:157]
	s_delay_alu instid0(VALU_DEP_1) | instskip(NEXT) | instid1(VALU_DEP_1)
	v_add_co_u32 v156, s8, v152, v156
	v_add_co_ci_u32_e64 v157, null, v153, v157, s8
	.loc	1 34 20 is_stmt 1               ; attention_fwd.py:34:20
	global_load_u16 v136, v[156:157], off
	s_waitcnt vmcnt(0)
	scratch_store_b32 off, v136, off offset:20 ; 4-byte Folded Spill
.LBB0_273:                              ;   in Loop: Header=BB0_259 Depth=1
	.loc	1 0 20 is_stmt 0                ; attention_fwd.py:0:20
	s_or_b32 exec_lo, exec_lo, s1
	.loc	1 32 27 is_stmt 1               ; attention_fwd.py:32:27
	v_add_nc_u32_e32 v136, 0x8e, v169
	v_mov_b32_e32 v156, 0
	s_delay_alu instid0(VALU_DEP_2)
	.loc	1 34 51                         ; attention_fwd.py:34:51
	v_cmp_gt_i32_e64 s4, s100, v136
	v_mov_b32_e32 v136, 0
	scratch_store_b32 off, v156, off offset:28 ; 4-byte Folded Spill
	v_writelane_b32 v255, s4, 6
	.loc	1 34 20 is_stmt 0               ; attention_fwd.py:34:20
	scratch_store_b32 off, v136, off offset:32 ; 4-byte Folded Spill
	s_and_saveexec_b32 s1, s4
	s_cbranch_execz .LBB0_275
; %bb.274:                              ;   in Loop: Header=BB0_259 Depth=1
	.loc	1 33 39 is_stmt 1               ; attention_fwd.py:33:39
	scratch_load_b32 v136, off, off offset:316 ; 4-byte Folded Reload
	s_waitcnt vmcnt(0)
	v_add_nc_u32_e32 v156, s99, v136
	s_delay_alu instid0(VALU_DEP_1) | instskip(NEXT) | instid1(VALU_DEP_1)
	.loc	1 33 21 is_stmt 0               ; attention_fwd.py:33:21
	v_ashrrev_i32_e32 v157, 31, v156
	.loc	1 33 51                         ; attention_fwd.py:33:51
	v_lshlrev_b64 v[156:157], 1, v[156:157]
	s_delay_alu instid0(VALU_DEP_1) | instskip(NEXT) | instid1(VALU_DEP_1)
	v_add_co_u32 v156, s9, v152, v156
	v_add_co_ci_u32_e64 v157, null, v153, v157, s9
	.loc	1 34 20 is_stmt 1               ; attention_fwd.py:34:20
	global_load_u16 v136, v[156:157], off
	s_waitcnt vmcnt(0)
	scratch_store_b32 off, v136, off offset:32 ; 4-byte Folded Spill
.LBB0_275:                              ;   in Loop: Header=BB0_259 Depth=1
	.loc	1 0 20 is_stmt 0                ; attention_fwd.py:0:20
	s_or_b32 exec_lo, exec_lo, s1
	.loc	1 32 27 is_stmt 1               ; attention_fwd.py:32:27
	v_add_nc_u32_e32 v136, 0x90, v169
	s_delay_alu instid0(VALU_DEP_1) | instskip(NEXT) | instid1(VALU_DEP_1)
	.loc	1 34 51                         ; attention_fwd.py:34:51
	v_cmp_gt_i32_e64 s4, s100, v136
	v_writelane_b32 v255, s4, 7
	.loc	1 34 20 is_stmt 0               ; attention_fwd.py:34:20
	s_and_saveexec_b32 s1, s4
	s_cbranch_execz .LBB0_277
; %bb.276:                              ;   in Loop: Header=BB0_259 Depth=1
	.loc	1 33 39 is_stmt 1               ; attention_fwd.py:33:39
	scratch_load_b32 v136, off, off offset:308 ; 4-byte Folded Reload
	s_waitcnt vmcnt(0)
	v_add_nc_u32_e32 v156, s99, v136
	s_delay_alu instid0(VALU_DEP_1) | instskip(NEXT) | instid1(VALU_DEP_1)
	.loc	1 33 21 is_stmt 0               ; attention_fwd.py:33:21
	v_ashrrev_i32_e32 v157, 31, v156
	.loc	1 33 51                         ; attention_fwd.py:33:51
	v_lshlrev_b64 v[156:157], 1, v[156:157]
	s_delay_alu instid0(VALU_DEP_1) | instskip(NEXT) | instid1(VALU_DEP_1)
	v_add_co_u32 v156, s10, v152, v156
	v_add_co_ci_u32_e64 v157, null, v153, v157, s10
	.loc	1 34 20 is_stmt 1               ; attention_fwd.py:34:20
	global_load_u16 v136, v[156:157], off
	s_waitcnt vmcnt(0)
	scratch_store_b32 off, v136, off offset:28 ; 4-byte Folded Spill
.LBB0_277:                              ;   in Loop: Header=BB0_259 Depth=1
	.loc	1 0 20 is_stmt 0                ; attention_fwd.py:0:20
	s_or_b32 exec_lo, exec_lo, s1
	.loc	1 32 27 is_stmt 1               ; attention_fwd.py:32:27
	v_add_nc_u32_e32 v136, 0x92, v169
	v_mov_b32_e32 v156, 0
	s_delay_alu instid0(VALU_DEP_2)
	.loc	1 34 51                         ; attention_fwd.py:34:51
	v_cmp_gt_i32_e64 s4, s100, v136
	v_mov_b32_e32 v136, 0
	scratch_store_b32 off, v156, off offset:36 ; 4-byte Folded Spill
	v_writelane_b32 v255, s4, 8
	.loc	1 34 20 is_stmt 0               ; attention_fwd.py:34:20
	scratch_store_b32 off, v136, off offset:40 ; 4-byte Folded Spill
	s_and_saveexec_b32 s1, s4
	s_cbranch_execz .LBB0_279
; %bb.278:                              ;   in Loop: Header=BB0_259 Depth=1
	.loc	1 33 39 is_stmt 1               ; attention_fwd.py:33:39
	scratch_load_b32 v136, off, off offset:300 ; 4-byte Folded Reload
	s_waitcnt vmcnt(0)
	v_add_nc_u32_e32 v156, s99, v136
	s_delay_alu instid0(VALU_DEP_1) | instskip(NEXT) | instid1(VALU_DEP_1)
	.loc	1 33 21 is_stmt 0               ; attention_fwd.py:33:21
	v_ashrrev_i32_e32 v157, 31, v156
	.loc	1 33 51                         ; attention_fwd.py:33:51
	v_lshlrev_b64 v[156:157], 1, v[156:157]
	s_delay_alu instid0(VALU_DEP_1) | instskip(NEXT) | instid1(VALU_DEP_1)
	v_add_co_u32 v156, s11, v152, v156
	v_add_co_ci_u32_e64 v157, null, v153, v157, s11
	.loc	1 34 20 is_stmt 1               ; attention_fwd.py:34:20
	global_load_u16 v136, v[156:157], off
	s_waitcnt vmcnt(0)
	scratch_store_b32 off, v136, off offset:40 ; 4-byte Folded Spill
.LBB0_279:                              ;   in Loop: Header=BB0_259 Depth=1
	.loc	1 0 20 is_stmt 0                ; attention_fwd.py:0:20
	s_or_b32 exec_lo, exec_lo, s1
	.loc	1 32 27 is_stmt 1               ; attention_fwd.py:32:27
	v_add_nc_u32_e32 v136, 0x94, v169
	s_delay_alu instid0(VALU_DEP_1) | instskip(NEXT) | instid1(VALU_DEP_1)
	.loc	1 34 51                         ; attention_fwd.py:34:51
	v_cmp_gt_i32_e64 s4, s100, v136
	v_writelane_b32 v255, s4, 9
	.loc	1 34 20 is_stmt 0               ; attention_fwd.py:34:20
	s_and_saveexec_b32 s1, s4
	s_cbranch_execz .LBB0_281
; %bb.280:                              ;   in Loop: Header=BB0_259 Depth=1
	.loc	1 33 39 is_stmt 1               ; attention_fwd.py:33:39
	scratch_load_b32 v136, off, off offset:292 ; 4-byte Folded Reload
	s_waitcnt vmcnt(0)
	v_add_nc_u32_e32 v156, s99, v136
	s_delay_alu instid0(VALU_DEP_1) | instskip(NEXT) | instid1(VALU_DEP_1)
	.loc	1 33 21 is_stmt 0               ; attention_fwd.py:33:21
	v_ashrrev_i32_e32 v157, 31, v156
	.loc	1 33 51                         ; attention_fwd.py:33:51
	v_lshlrev_b64 v[156:157], 1, v[156:157]
	s_delay_alu instid0(VALU_DEP_1) | instskip(NEXT) | instid1(VALU_DEP_1)
	v_add_co_u32 v156, s12, v152, v156
	v_add_co_ci_u32_e64 v157, null, v153, v157, s12
	.loc	1 34 20 is_stmt 1               ; attention_fwd.py:34:20
	global_load_u16 v136, v[156:157], off
	s_waitcnt vmcnt(0)
	scratch_store_b32 off, v136, off offset:36 ; 4-byte Folded Spill
.LBB0_281:                              ;   in Loop: Header=BB0_259 Depth=1
	.loc	1 0 20 is_stmt 0                ; attention_fwd.py:0:20
	s_or_b32 exec_lo, exec_lo, s1
	.loc	1 32 27 is_stmt 1               ; attention_fwd.py:32:27
	v_add_nc_u32_e32 v136, 0x96, v169
	v_mov_b32_e32 v156, 0
	s_delay_alu instid0(VALU_DEP_2)
	.loc	1 34 51                         ; attention_fwd.py:34:51
	v_cmp_gt_i32_e64 s12, s100, v136
	v_mov_b32_e32 v136, 0
	s_clause 0x1                            ; 8-byte Folded Spill
	scratch_store_b32 off, v156, off offset:44
	scratch_store_b32 off, v136, off offset:48
	.loc	1 34 20 is_stmt 0               ; attention_fwd.py:34:20
	s_and_saveexec_b32 s1, s12
	s_cbranch_execz .LBB0_283
; %bb.282:                              ;   in Loop: Header=BB0_259 Depth=1
	.loc	1 33 39 is_stmt 1               ; attention_fwd.py:33:39
	scratch_load_b32 v136, off, off offset:284 ; 4-byte Folded Reload
	s_waitcnt vmcnt(0)
	v_add_nc_u32_e32 v156, s99, v136
	s_delay_alu instid0(VALU_DEP_1) | instskip(NEXT) | instid1(VALU_DEP_1)
	.loc	1 33 21 is_stmt 0               ; attention_fwd.py:33:21
	v_ashrrev_i32_e32 v157, 31, v156
	.loc	1 33 51                         ; attention_fwd.py:33:51
	v_lshlrev_b64 v[156:157], 1, v[156:157]
	s_delay_alu instid0(VALU_DEP_1) | instskip(NEXT) | instid1(VALU_DEP_1)
	v_add_co_u32 v156, s13, v152, v156
	v_add_co_ci_u32_e64 v157, null, v153, v157, s13
	.loc	1 34 20 is_stmt 1               ; attention_fwd.py:34:20
	global_load_u16 v136, v[156:157], off
	s_waitcnt vmcnt(0)
	scratch_store_b32 off, v136, off offset:48 ; 4-byte Folded Spill
.LBB0_283:                              ;   in Loop: Header=BB0_259 Depth=1
	.loc	1 0 20 is_stmt 0                ; attention_fwd.py:0:20
	s_or_b32 exec_lo, exec_lo, s1
	.loc	1 32 27 is_stmt 1               ; attention_fwd.py:32:27
	v_add_nc_u32_e32 v136, 0x98, v169
	s_delay_alu instid0(VALU_DEP_1)
	.loc	1 34 51                         ; attention_fwd.py:34:51
	v_cmp_gt_i32_e64 s13, s100, v136
	.loc	1 34 20 is_stmt 0               ; attention_fwd.py:34:20
	s_and_saveexec_b32 s1, s13
	s_cbranch_execz .LBB0_285
; %bb.284:                              ;   in Loop: Header=BB0_259 Depth=1
	.loc	1 33 39 is_stmt 1               ; attention_fwd.py:33:39
	scratch_load_b32 v136, off, off offset:276 ; 4-byte Folded Reload
	s_waitcnt vmcnt(0)
	v_add_nc_u32_e32 v156, s99, v136
	s_delay_alu instid0(VALU_DEP_1) | instskip(NEXT) | instid1(VALU_DEP_1)
	.loc	1 33 21 is_stmt 0               ; attention_fwd.py:33:21
	v_ashrrev_i32_e32 v157, 31, v156
	.loc	1 33 51                         ; attention_fwd.py:33:51
	v_lshlrev_b64 v[156:157], 1, v[156:157]
	s_delay_alu instid0(VALU_DEP_1) | instskip(NEXT) | instid1(VALU_DEP_1)
	v_add_co_u32 v156, s14, v152, v156
	v_add_co_ci_u32_e64 v157, null, v153, v157, s14
	.loc	1 34 20 is_stmt 1               ; attention_fwd.py:34:20
	global_load_u16 v136, v[156:157], off
	s_waitcnt vmcnt(0)
	scratch_store_b32 off, v136, off offset:44 ; 4-byte Folded Spill
.LBB0_285:                              ;   in Loop: Header=BB0_259 Depth=1
	.loc	1 0 20 is_stmt 0                ; attention_fwd.py:0:20
	s_or_b32 exec_lo, exec_lo, s1
	.loc	1 32 27 is_stmt 1               ; attention_fwd.py:32:27
	v_add_nc_u32_e32 v136, 0x9a, v169
	v_mov_b32_e32 v156, 0
	s_delay_alu instid0(VALU_DEP_2)
	.loc	1 34 51                         ; attention_fwd.py:34:51
	v_cmp_gt_i32_e64 s14, s100, v136
	v_mov_b32_e32 v136, 0
	s_clause 0x1                            ; 8-byte Folded Spill
	scratch_store_b32 off, v156, off offset:52
	scratch_store_b32 off, v136, off offset:56
	.loc	1 34 20 is_stmt 0               ; attention_fwd.py:34:20
	s_and_saveexec_b32 s1, s14
	s_cbranch_execz .LBB0_287
; %bb.286:                              ;   in Loop: Header=BB0_259 Depth=1
	.loc	1 33 39 is_stmt 1               ; attention_fwd.py:33:39
	scratch_load_b32 v136, off, off offset:268 ; 4-byte Folded Reload
	s_waitcnt vmcnt(0)
	v_add_nc_u32_e32 v156, s99, v136
	s_delay_alu instid0(VALU_DEP_1) | instskip(NEXT) | instid1(VALU_DEP_1)
	.loc	1 33 21 is_stmt 0               ; attention_fwd.py:33:21
	v_ashrrev_i32_e32 v157, 31, v156
	.loc	1 33 51                         ; attention_fwd.py:33:51
	v_lshlrev_b64 v[156:157], 1, v[156:157]
	s_delay_alu instid0(VALU_DEP_1) | instskip(NEXT) | instid1(VALU_DEP_1)
	v_add_co_u32 v156, s15, v152, v156
	v_add_co_ci_u32_e64 v157, null, v153, v157, s15
	.loc	1 34 20 is_stmt 1               ; attention_fwd.py:34:20
	global_load_u16 v136, v[156:157], off
	s_waitcnt vmcnt(0)
	scratch_store_b32 off, v136, off offset:56 ; 4-byte Folded Spill
.LBB0_287:                              ;   in Loop: Header=BB0_259 Depth=1
	.loc	1 0 20 is_stmt 0                ; attention_fwd.py:0:20
	s_or_b32 exec_lo, exec_lo, s1
	.loc	1 32 27 is_stmt 1               ; attention_fwd.py:32:27
	v_add_nc_u32_e32 v136, 0x9c, v169
	s_delay_alu instid0(VALU_DEP_1)
	.loc	1 34 51                         ; attention_fwd.py:34:51
	v_cmp_gt_i32_e64 s15, s100, v136
	;; [unrolled: 61-line block ×3, first 2 shown]
	.loc	1 34 20 is_stmt 0               ; attention_fwd.py:34:20
	s_and_saveexec_b32 s1, s17
	s_cbranch_execz .LBB0_293
; %bb.292:                              ;   in Loop: Header=BB0_259 Depth=1
	.loc	1 33 39 is_stmt 1               ; attention_fwd.py:33:39
	scratch_load_b32 v157, off, off offset:244 ; 4-byte Folded Reload
	s_waitcnt vmcnt(0)
	v_add_nc_u32_e32 v170, s99, v157
	s_delay_alu instid0(VALU_DEP_1) | instskip(NEXT) | instid1(VALU_DEP_1)
	.loc	1 33 21 is_stmt 0               ; attention_fwd.py:33:21
	v_ashrrev_i32_e32 v171, 31, v170
	.loc	1 33 51                         ; attention_fwd.py:33:51
	v_lshlrev_b64 v[170:171], 1, v[170:171]
	s_delay_alu instid0(VALU_DEP_1) | instskip(NEXT) | instid1(VALU_DEP_1)
	v_add_co_u32 v170, s18, v152, v170
	v_add_co_ci_u32_e64 v171, null, v153, v171, s18
	.loc	1 34 20 is_stmt 1               ; attention_fwd.py:34:20
	global_load_u16 v156, v[170:171], off
	s_waitcnt vmcnt(0)
	scratch_store_b32 off, v156, off offset:60 ; 4-byte Folded Spill
.LBB0_293:                              ;   in Loop: Header=BB0_259 Depth=1
	.loc	1 0 20 is_stmt 0                ; attention_fwd.py:0:20
	s_or_b32 exec_lo, exec_lo, s1
	v_dual_mov_b32 v136, 0 :: v_dual_add_nc_u32 v167, 0xa2, v169
	s_delay_alu instid0(VALU_DEP_1)
	.loc	1 34 51                         ; attention_fwd.py:34:51
	v_cmp_gt_i32_e64 s18, s100, v167
	scratch_store_b32 off, v136, off offset:68 ; 4-byte Folded Spill
	v_mov_b32_e32 v136, 0
	.loc	1 34 20                         ; attention_fwd.py:34:20
	scratch_store_b32 off, v136, off offset:72 ; 4-byte Folded Spill
	s_and_saveexec_b32 s1, s18
	s_cbranch_execz .LBB0_295
; %bb.294:                              ;   in Loop: Header=BB0_259 Depth=1
	.loc	1 33 39 is_stmt 1               ; attention_fwd.py:33:39
	scratch_load_b32 v167, off, off offset:236 ; 4-byte Folded Reload
	s_waitcnt vmcnt(0)
	v_add_nc_u32_e32 v170, s99, v167
	s_delay_alu instid0(VALU_DEP_1) | instskip(NEXT) | instid1(VALU_DEP_1)
	.loc	1 33 21 is_stmt 0               ; attention_fwd.py:33:21
	v_ashrrev_i32_e32 v171, 31, v170
	.loc	1 33 51                         ; attention_fwd.py:33:51
	v_lshlrev_b64 v[170:171], 1, v[170:171]
	s_delay_alu instid0(VALU_DEP_1) | instskip(NEXT) | instid1(VALU_DEP_1)
	v_add_co_u32 v170, s19, v152, v170
	v_add_co_ci_u32_e64 v171, null, v153, v171, s19
	.loc	1 34 20 is_stmt 1               ; attention_fwd.py:34:20
	global_load_u16 v136, v[170:171], off
	s_waitcnt vmcnt(0)
	scratch_store_b32 off, v136, off offset:72 ; 4-byte Folded Spill
.LBB0_295:                              ;   in Loop: Header=BB0_259 Depth=1
	.loc	1 0 20 is_stmt 0                ; attention_fwd.py:0:20
	s_or_b32 exec_lo, exec_lo, s1
	.loc	1 32 27 is_stmt 1               ; attention_fwd.py:32:27
	v_add_nc_u32_e32 v167, 0xa4, v169
	s_delay_alu instid0(VALU_DEP_1)
	.loc	1 34 51                         ; attention_fwd.py:34:51
	v_cmp_gt_i32_e64 s19, s100, v167
	.loc	1 34 20 is_stmt 0               ; attention_fwd.py:34:20
	s_and_saveexec_b32 s1, s19
	s_cbranch_execz .LBB0_297
; %bb.296:                              ;   in Loop: Header=BB0_259 Depth=1
	.loc	1 33 39 is_stmt 1               ; attention_fwd.py:33:39
	scratch_load_b32 v167, off, off offset:228 ; 4-byte Folded Reload
	s_waitcnt vmcnt(0)
	v_add_nc_u32_e32 v170, s99, v167
	s_delay_alu instid0(VALU_DEP_1) | instskip(NEXT) | instid1(VALU_DEP_1)
	.loc	1 33 21 is_stmt 0               ; attention_fwd.py:33:21
	v_ashrrev_i32_e32 v171, 31, v170
	.loc	1 33 51                         ; attention_fwd.py:33:51
	v_lshlrev_b64 v[170:171], 1, v[170:171]
	s_delay_alu instid0(VALU_DEP_1) | instskip(NEXT) | instid1(VALU_DEP_1)
	v_add_co_u32 v170, s20, v152, v170
	v_add_co_ci_u32_e64 v171, null, v153, v171, s20
	.loc	1 34 20 is_stmt 1               ; attention_fwd.py:34:20
	global_load_u16 v136, v[170:171], off
	s_waitcnt vmcnt(0)
	scratch_store_b32 off, v136, off offset:68 ; 4-byte Folded Spill
.LBB0_297:                              ;   in Loop: Header=BB0_259 Depth=1
	.loc	1 0 20 is_stmt 0                ; attention_fwd.py:0:20
	s_or_b32 exec_lo, exec_lo, s1
	v_dual_mov_b32 v136, 0 :: v_dual_add_nc_u32 v167, 0xa6, v169
	v_mov_b32_e32 v157, 0
	s_delay_alu instid0(VALU_DEP_2)
	.loc	1 34 51                         ; attention_fwd.py:34:51
	v_cmp_gt_i32_e64 s20, s100, v167
	.loc	1 34 20                         ; attention_fwd.py:34:20
	s_and_saveexec_b32 s1, s20
	s_cbranch_execz .LBB0_299
; %bb.298:                              ;   in Loop: Header=BB0_259 Depth=1
	.loc	1 33 39 is_stmt 1               ; attention_fwd.py:33:39
	scratch_load_b32 v167, off, off offset:220 ; 4-byte Folded Reload
	s_waitcnt vmcnt(0)
	v_add_nc_u32_e32 v170, s99, v167
	s_delay_alu instid0(VALU_DEP_1) | instskip(NEXT) | instid1(VALU_DEP_1)
	.loc	1 33 21 is_stmt 0               ; attention_fwd.py:33:21
	v_ashrrev_i32_e32 v171, 31, v170
	.loc	1 33 51                         ; attention_fwd.py:33:51
	v_lshlrev_b64 v[170:171], 1, v[170:171]
	s_delay_alu instid0(VALU_DEP_1) | instskip(NEXT) | instid1(VALU_DEP_1)
	v_add_co_u32 v170, s21, v152, v170
	v_add_co_ci_u32_e64 v171, null, v153, v171, s21
	.loc	1 34 20 is_stmt 1               ; attention_fwd.py:34:20
	global_load_u16 v157, v[170:171], off
.LBB0_299:                              ;   in Loop: Header=BB0_259 Depth=1
	.loc	1 0 20 is_stmt 0                ; attention_fwd.py:0:20
	s_or_b32 exec_lo, exec_lo, s1
	.loc	1 32 27 is_stmt 1               ; attention_fwd.py:32:27
	v_add_nc_u32_e32 v167, 0xa8, v169
	s_delay_alu instid0(VALU_DEP_1)
	.loc	1 34 51                         ; attention_fwd.py:34:51
	v_cmp_gt_i32_e64 s21, s100, v167
	.loc	1 34 20 is_stmt 0               ; attention_fwd.py:34:20
	s_and_saveexec_b32 s1, s21
	s_cbranch_execz .LBB0_301
; %bb.300:                              ;   in Loop: Header=BB0_259 Depth=1
	.loc	1 33 39 is_stmt 1               ; attention_fwd.py:33:39
	scratch_load_b32 v167, off, off offset:212 ; 4-byte Folded Reload
	s_waitcnt vmcnt(0)
	v_add_nc_u32_e32 v170, s99, v167
	s_delay_alu instid0(VALU_DEP_1) | instskip(NEXT) | instid1(VALU_DEP_1)
	.loc	1 33 21 is_stmt 0               ; attention_fwd.py:33:21
	v_ashrrev_i32_e32 v171, 31, v170
	.loc	1 33 51                         ; attention_fwd.py:33:51
	v_lshlrev_b64 v[170:171], 1, v[170:171]
	s_delay_alu instid0(VALU_DEP_1) | instskip(NEXT) | instid1(VALU_DEP_1)
	v_add_co_u32 v170, s22, v152, v170
	v_add_co_ci_u32_e64 v171, null, v153, v171, s22
	.loc	1 34 20 is_stmt 1               ; attention_fwd.py:34:20
	global_load_u16 v136, v[170:171], off
.LBB0_301:                              ;   in Loop: Header=BB0_259 Depth=1
	.loc	1 0 20 is_stmt 0                ; attention_fwd.py:0:20
	s_or_b32 exec_lo, exec_lo, s1
	v_dual_mov_b32 v156, 0 :: v_dual_add_nc_u32 v167, 0xaa, v169
	v_mov_b32_e32 v183, 0
	s_delay_alu instid0(VALU_DEP_2)
	.loc	1 34 51                         ; attention_fwd.py:34:51
	v_cmp_gt_i32_e64 s22, s100, v167
	.loc	1 34 20                         ; attention_fwd.py:34:20
	s_and_saveexec_b32 s1, s22
	s_cbranch_execz .LBB0_303
; %bb.302:                              ;   in Loop: Header=BB0_259 Depth=1
	.loc	1 33 39 is_stmt 1               ; attention_fwd.py:33:39
	scratch_load_b32 v167, off, off offset:204 ; 4-byte Folded Reload
	s_waitcnt vmcnt(0)
	v_add_nc_u32_e32 v170, s99, v167
	s_delay_alu instid0(VALU_DEP_1) | instskip(NEXT) | instid1(VALU_DEP_1)
	.loc	1 33 21 is_stmt 0               ; attention_fwd.py:33:21
	v_ashrrev_i32_e32 v171, 31, v170
	.loc	1 33 51                         ; attention_fwd.py:33:51
	v_lshlrev_b64 v[170:171], 1, v[170:171]
	s_delay_alu instid0(VALU_DEP_1) | instskip(NEXT) | instid1(VALU_DEP_1)
	v_add_co_u32 v170, s23, v152, v170
	v_add_co_ci_u32_e64 v171, null, v153, v171, s23
	.loc	1 34 20 is_stmt 1               ; attention_fwd.py:34:20
	global_load_u16 v183, v[170:171], off
.LBB0_303:                              ;   in Loop: Header=BB0_259 Depth=1
	.loc	1 0 20 is_stmt 0                ; attention_fwd.py:0:20
	s_or_b32 exec_lo, exec_lo, s1
	.loc	1 32 27 is_stmt 1               ; attention_fwd.py:32:27
	v_add_nc_u32_e32 v167, 0xac, v169
	s_delay_alu instid0(VALU_DEP_1)
	.loc	1 34 51                         ; attention_fwd.py:34:51
	v_cmp_gt_i32_e64 s23, s100, v167
	.loc	1 34 20 is_stmt 0               ; attention_fwd.py:34:20
	s_and_saveexec_b32 s1, s23
	s_cbranch_execz .LBB0_305
; %bb.304:                              ;   in Loop: Header=BB0_259 Depth=1
	.loc	1 33 39 is_stmt 1               ; attention_fwd.py:33:39
	scratch_load_b32 v167, off, off offset:196 ; 4-byte Folded Reload
	s_waitcnt vmcnt(0)
	v_add_nc_u32_e32 v170, s99, v167
	s_delay_alu instid0(VALU_DEP_1) | instskip(NEXT) | instid1(VALU_DEP_1)
	.loc	1 33 21 is_stmt 0               ; attention_fwd.py:33:21
	v_ashrrev_i32_e32 v171, 31, v170
	.loc	1 33 51                         ; attention_fwd.py:33:51
	v_lshlrev_b64 v[170:171], 1, v[170:171]
	s_delay_alu instid0(VALU_DEP_1) | instskip(NEXT) | instid1(VALU_DEP_1)
	v_add_co_u32 v170, s24, v152, v170
	v_add_co_ci_u32_e64 v171, null, v153, v171, s24
	.loc	1 34 20 is_stmt 1               ; attention_fwd.py:34:20
	global_load_u16 v156, v[170:171], off
.LBB0_305:                              ;   in Loop: Header=BB0_259 Depth=1
	;; [unrolled: 52-line block ×6, first 2 shown]
	.loc	1 0 20 is_stmt 0                ; attention_fwd.py:0:20
	s_or_b32 exec_lo, exec_lo, s1
	v_dual_mov_b32 v192, 0 :: v_dual_add_nc_u32 v167, 0xbe, v169
	v_mov_b32_e32 v193, 0
	s_delay_alu instid0(VALU_DEP_2)
	.loc	1 34 51                         ; attention_fwd.py:34:51
	v_cmp_gt_i32_e64 s33, s100, v167
	.loc	1 34 20                         ; attention_fwd.py:34:20
	s_and_saveexec_b32 s1, s33
	s_cbranch_execz .LBB0_323
; %bb.322:                              ;   in Loop: Header=BB0_259 Depth=1
	.loc	1 33 21 is_stmt 1               ; attention_fwd.py:33:21
	scratch_load_b32 v167, off, off offset:124 ; 4-byte Folded Reload
	s_waitcnt vmcnt(0)
	v_add_nc_u32_e32 v169, s99, v167
	s_delay_alu instid0(VALU_DEP_1) | instskip(NEXT) | instid1(VALU_DEP_1)
	v_ashrrev_i32_e32 v170, 31, v169
	.loc	1 33 51 is_stmt 0               ; attention_fwd.py:33:51
	v_lshlrev_b64 v[169:170], 1, v[169:170]
	s_delay_alu instid0(VALU_DEP_1) | instskip(NEXT) | instid1(VALU_DEP_1)
	v_add_co_u32 v169, s34, v152, v169
	v_add_co_ci_u32_e64 v170, null, v153, v170, s34
	.loc	1 34 20 is_stmt 1               ; attention_fwd.py:34:20
	global_load_u16 v192, v[169:170], off
.LBB0_323:                              ;   in Loop: Header=BB0_259 Depth=1
	.loc	1 0 20 is_stmt 0                ; attention_fwd.py:0:20
	s_or_b32 exec_lo, exec_lo, s1
	.loc	1 35 32 is_stmt 1               ; attention_fwd.py:35:32
	ds_store_b16 v137, v129 offset:16384
	ds_store_b16 v137, v135 offset:20480
	;; [unrolled: 1-line block ×32, first 2 shown]
	v_add_nc_u32_e32 v160, 0, v179
	v_dual_mov_b32 v226, v179 :: v_dual_mov_b32 v217, s43
	s_waitcnt vmcnt(0) lgkmcnt(0)
	s_waitcnt_vscnt null, 0x0
	s_barrier
	buffer_gl0_inv
	.loc	1 35 23 is_stmt 0               ; attention_fwd.py:35:23
	v_mov_b32_e32 v215, s41
	.loc	1 35 32                         ; attention_fwd.py:35:32
	ds_load_b128 v[128:131], v160 offset:16384
	ds_load_b128 v[132:135], v233 offset:16384
	;; [unrolled: 1-line block ×6, first 2 shown]
	.loc	1 35 23                         ; attention_fwd.py:35:23
	v_dual_mov_b32 v216, s42 :: v_dual_mov_b32 v213, s39
	v_dual_mov_b32 v214, s40 :: v_dual_mov_b32 v211, s37
	v_mov_b32_e32 v212, s38
	v_mov_b32_e32 v210, s36
	s_mov_b64 s[4:5], s[36:37]
	s_mov_b64 s[6:7], s[38:39]
	;; [unrolled: 1-line block ×4, first 2 shown]
	s_waitcnt lgkmcnt(4)
	v_wmma_f32_16x16x16_f16 v[218:225], v[128:135], v[120:127], v[210:217]
	.loc	1 35 32                         ; attention_fwd.py:35:32
	ds_load_b128 v[128:131], v234 offset:20480
	ds_load_b128 v[132:135], v235 offset:20480
	.loc	1 35 23                         ; attention_fwd.py:35:23
	s_waitcnt lgkmcnt(4)
	v_wmma_f32_16x16x16_f16 v[218:225], v[144:151], v[112:119], v[218:225]
	.loc	1 35 32                         ; attention_fwd.py:35:32
	ds_load_b128 v[148:151], v237 offset:16384
	ds_load_b128 v[144:147], v236 offset:16384
	;; [unrolled: 1-line block ×4, first 2 shown]
	.loc	1 35 23                         ; attention_fwd.py:35:23
	s_waitcnt lgkmcnt(2)
	v_wmma_f32_16x16x16_f16 v[218:225], v[144:151], v[104:111], v[218:225]
	v_wmma_f32_16x16x16_f16 v[144:151], v[202:209], v[120:127], v[210:217]
	s_delay_alu instid0(VALU_DEP_1)
	v_wmma_f32_16x16x16_f16 v[144:151], v[128:135], v[112:119], v[144:151]
	.loc	1 35 32                         ; attention_fwd.py:35:32
	ds_load_b128 v[132:135], v239 offset:16384
	ds_load_b128 v[128:131], v238 offset:16384
	ds_load_b128 v[202:205], v238 offset:20480
	ds_load_b128 v[206:209], v239 offset:20480
	.loc	1 35 23                         ; attention_fwd.py:35:23
	s_waitcnt lgkmcnt(4)
	v_wmma_f32_16x16x16_f16 v[144:151], v[167:174], v[104:111], v[144:151]
	s_waitcnt lgkmcnt(2)
	v_wmma_f32_16x16x16_f16 v[218:225], v[128:135], v[96:103], v[218:225]
	.loc	1 35 32                         ; attention_fwd.py:35:32
	ds_load_b128 v[132:135], v241 offset:16384
	ds_load_b128 v[128:131], v240 offset:16384
	ds_load_b128 v[167:170], v240 offset:20480
	ds_load_b128 v[171:174], v241 offset:20480
	.loc	1 35 23                         ; attention_fwd.py:35:23
	s_waitcnt lgkmcnt(4)
	v_wmma_f32_16x16x16_f16 v[144:151], v[202:209], v[96:103], v[144:151]
	s_waitcnt lgkmcnt(2)
	;; [unrolled: 10-line block ×3, first 2 shown]
	v_wmma_f32_16x16x16_f16 v[175:182], v[128:135], v[120:127], v[210:217]
	s_waitcnt lgkmcnt(0)
	v_wmma_f32_16x16x16_f16 v[128:135], v[202:209], v[120:127], v[210:217]
	.loc	1 35 32                         ; attention_fwd.py:35:32
	ds_load_b128 v[206:209], v235 offset:24576
	ds_load_b128 v[202:205], v234 offset:24576
	;; [unrolled: 1-line block ×4, first 2 shown]
	.loc	1 35 23                         ; attention_fwd.py:35:23
	s_waitcnt lgkmcnt(2)
	v_wmma_f32_16x16x16_f16 v[175:182], v[202:209], v[112:119], v[175:182]
	.loc	1 35 32                         ; attention_fwd.py:35:32
	ds_load_b128 v[171:174], v237 offset:24576
	ds_load_b128 v[167:170], v236 offset:24576
	;; [unrolled: 1-line block ×4, first 2 shown]
	.loc	1 35 23                         ; attention_fwd.py:35:23
	s_waitcnt lgkmcnt(4)
	v_wmma_f32_16x16x16_f16 v[128:135], v[210:217], v[112:119], v[128:135]
	s_waitcnt lgkmcnt(2)
	v_wmma_f32_16x16x16_f16 v[175:182], v[167:174], v[104:111], v[175:182]
	s_waitcnt lgkmcnt(0)
	s_delay_alu instid0(VALU_DEP_2)
	v_wmma_f32_16x16x16_f16 v[128:135], v[202:209], v[104:111], v[128:135]
	.loc	1 35 32                         ; attention_fwd.py:35:32
	ds_load_b128 v[171:174], v239 offset:24576
	ds_load_b128 v[167:170], v238 offset:24576
	ds_load_b128 v[202:205], v238 offset:28672
	ds_load_b128 v[206:209], v239 offset:28672
	.loc	1 35 23                         ; attention_fwd.py:35:23
	s_waitcnt lgkmcnt(2)
	v_wmma_f32_16x16x16_f16 v[175:182], v[167:174], v[96:103], v[175:182]
	s_waitcnt lgkmcnt(0)
	v_wmma_f32_16x16x16_f16 v[128:135], v[202:209], v[96:103], v[128:135]
	.loc	1 35 32                         ; attention_fwd.py:35:32
	ds_load_b128 v[171:174], v241 offset:24576
	ds_load_b128 v[167:170], v240 offset:24576
	ds_load_b128 v[202:205], v240 offset:28672
	ds_load_b128 v[206:209], v241 offset:28672
	.loc	1 35 23                         ; attention_fwd.py:35:23
	s_waitcnt lgkmcnt(2)
	v_wmma_f32_16x16x16_f16 v[175:182], v[167:174], v[88:95], v[175:182]
	s_waitcnt lgkmcnt(0)
	;; [unrolled: 10-line block ×7, first 2 shown]
	v_wmma_f32_16x16x16_f16 v[144:151], v[202:209], v[64:71], v[144:151]
	.loc	1 35 32                         ; attention_fwd.py:35:32
	ds_load_b128 v[171:174], v247 offset:24576
	ds_load_b128 v[167:170], v246 offset:24576
	;; [unrolled: 1-line block ×4, first 2 shown]
	.loc	1 35 38                         ; attention_fwd.py:35:38
	v_dual_mul_f32 v160, s102, v218 :: v_dual_mul_f32 v161, s102, v219
	v_dual_mul_f32 v162, s102, v220 :: v_dual_mul_f32 v145, s102, v145
	;; [unrolled: 1-line block ×4, first 2 shown]
	v_mul_f32_e32 v151, s102, v151
	.loc	1 35 23                         ; attention_fwd.py:35:23
	s_waitcnt lgkmcnt(2)
	v_wmma_f32_16x16x16_f16 v[175:182], v[167:174], v[64:71], v[175:182]
	.loc	1 35 38                         ; attention_fwd.py:35:38
	v_mul_f32_e32 v148, s102, v148
	.loc	1 35 23                         ; attention_fwd.py:35:23
	s_waitcnt lgkmcnt(0)
	v_wmma_f32_16x16x16_f16 v[128:135], v[202:209], v[64:71], v[128:135]
	.loc	1 35 38                         ; attention_fwd.py:35:38
	v_mul_f32_e32 v169, s102, v223
	v_dual_mul_f32 v167, s102, v221 :: v_dual_mul_f32 v172, s102, v175
	v_dual_mul_f32 v174, s102, v177 :: v_dual_mul_f32 v177, s102, v180
	.loc	1 32 27 is_stmt 1               ; attention_fwd.py:32:27
	scratch_load_b32 v180, off, off offset:76 ; 4-byte Folded Reload
	.loc	1 35 38                         ; attention_fwd.py:35:38
	v_dual_mul_f32 v175, s102, v178 :: v_dual_mul_f32 v178, s102, v181
	v_dual_mul_f32 v131, s102, v131 :: v_dual_mul_f32 v168, s102, v222
	;; [unrolled: 1-line block ×7, first 2 shown]
	s_waitcnt vmcnt(0)
	v_dual_mul_f32 v135, s102, v135 :: v_dual_add_nc_u32 v180, vcc_hi, v180
	s_delay_alu instid0(VALU_DEP_1) | instskip(NEXT) | instid1(VALU_DEP_1)
	v_dual_mul_f32 v134, s102, v134 :: v_dual_add_nc_u32 v181, 64, v180
	.loc	1 36 40                         ; attention_fwd.py:36:40
	v_cmp_le_i32_e64 s34, s100, v181
	.loc	1 38 45                         ; attention_fwd.py:38:45
	v_cmp_lt_i32_e64 s35, v163, v181
	.loc	1 38 66 is_stmt 0               ; attention_fwd.py:38:66
	s_or_b32 s1, s35, s34
	s_delay_alu instid0(SALU_CYCLE_1) | instskip(SKIP_1) | instid1(VALU_DEP_1)
	v_cndmask_b32_e64 v160, v160, 0xff800000, s1
	.loc	1 32 27 is_stmt 1               ; attention_fwd.py:32:27
	v_add_nc_u32_e32 v181, 0x42, v180
	.loc	1 36 40                         ; attention_fwd.py:36:40
	v_cmp_le_i32_e64 s36, s100, v181
	.loc	1 38 45                         ; attention_fwd.py:38:45
	v_cmp_lt_i32_e64 s37, v163, v181
	.loc	1 32 27                         ; attention_fwd.py:32:27
	v_add_nc_u32_e32 v181, 0x44, v180
	.loc	1 38 66                         ; attention_fwd.py:38:66
	s_or_b32 s1, s37, s36
	s_delay_alu instid0(VALU_DEP_1) | instskip(SKIP_2) | instid1(VALU_DEP_1)
	.loc	1 36 40                         ; attention_fwd.py:36:40
	v_cmp_le_i32_e64 s38, s100, v181
	.loc	1 38 45                         ; attention_fwd.py:38:45
	v_cmp_lt_i32_e64 s39, v163, v181
	.loc	1 32 27                         ; attention_fwd.py:32:27
	v_add_nc_u32_e32 v181, 0x46, v180
	.loc	1 36 40                         ; attention_fwd.py:36:40
	v_cmp_le_i32_e64 s40, s100, v181
	.loc	1 38 45                         ; attention_fwd.py:38:45
	v_cmp_lt_i32_e64 s41, v163, v181
	.loc	1 32 27                         ; attention_fwd.py:32:27
	v_add_nc_u32_e32 v181, 0x48, v180
	s_delay_alu instid0(VALU_DEP_1) | instskip(SKIP_2) | instid1(VALU_DEP_1)
	.loc	1 36 40                         ; attention_fwd.py:36:40
	v_cmp_le_i32_e64 s42, s100, v181
	.loc	1 38 45                         ; attention_fwd.py:38:45
	v_cmp_lt_i32_e64 s43, v163, v181
	.loc	1 32 27                         ; attention_fwd.py:32:27
	v_add_nc_u32_e32 v181, 0x4a, v180
	.loc	1 36 40                         ; attention_fwd.py:36:40
	v_cmp_le_i32_e64 s44, s100, v181
	.loc	1 38 45                         ; attention_fwd.py:38:45
	v_cmp_lt_i32_e64 s45, v163, v181
	.loc	1 32 27                         ; attention_fwd.py:32:27
	v_add_nc_u32_e32 v181, 0x4c, v180
	;; [unrolled: 13-line block ×13, first 2 shown]
	s_delay_alu instid0(VALU_DEP_1) | instskip(SKIP_3) | instid1(VALU_DEP_2)
	.loc	1 36 40                         ; attention_fwd.py:36:40
	v_cmp_le_i32_e64 s90, s100, v181
	.loc	1 38 45                         ; attention_fwd.py:38:45
	v_cmp_lt_i32_e64 s91, v163, v181
	.loc	1 32 27                         ; attention_fwd.py:32:27
	v_add_nc_u32_e32 v181, 0x7a, v180
	v_add_nc_u32_e32 v180, 0x7c, v180
	.loc	1 36 40                         ; attention_fwd.py:36:40
	v_cmp_le_i32_e64 s92, s100, v181
	s_delay_alu instid0(VALU_DEP_2)
	v_cmp_le_i32_e64 s94, s100, v180
	.loc	1 38 45                         ; attention_fwd.py:38:45
	v_cmp_lt_i32_e64 s95, v163, v180
	.loc	1 33 39                         ; attention_fwd.py:33:39
	scratch_load_b32 v180, off, off offset:80 ; 4-byte Folded Reload
	.loc	1 38 45                         ; attention_fwd.py:38:45
	v_cmp_lt_i32_e64 s93, v163, v181
	.loc	1 33 39                         ; attention_fwd.py:33:39
	s_waitcnt vmcnt(0)
	v_or_b32_e32 v180, 62, v180
	s_delay_alu instid0(VALU_DEP_1) | instskip(NEXT) | instid1(VALU_DEP_1)
	v_add3_u32 v180, v180, vcc_hi, 64
	.loc	1 36 40                         ; attention_fwd.py:36:40
	v_cmp_le_i32_e64 s96, s100, v180
	.loc	1 38 45                         ; attention_fwd.py:38:45
	v_cmp_lt_i32_e64 s97, v163, v180
	.loc	1 38 66 is_stmt 0               ; attention_fwd.py:38:66
	v_cndmask_b32_e64 v180, v161, 0xff800000, s1
	s_or_b32 s1, s39, s38
	s_delay_alu instid0(SALU_CYCLE_1) | instskip(SKIP_1) | instid1(VALU_DEP_2)
	v_cndmask_b32_e64 v162, v162, 0xff800000, s1
	s_or_b32 s1, s41, s40
.Ltmp3:
	.loc	2 170 27 is_stmt 1              ; standard.py:170:27 @[ standard.py:191:40 @[ attention_fwd.py:39:42 ] ]
	v_max_f32_e32 v161, v160, v180
.Ltmp4:
	.loc	1 38 66                         ; attention_fwd.py:38:66
	v_cndmask_b32_e64 v167, v167, 0xff800000, s1
	s_or_b32 s1, s43, s42
	.loc	1 35 38                         ; attention_fwd.py:35:38
	v_mul_f32_e32 v132, s102, v132
	.loc	1 38 66                         ; attention_fwd.py:38:66
	v_cndmask_b32_e64 v181, v168, 0xff800000, s1
	s_or_b32 s1, s45, s44
.Ltmp5:
	.loc	2 170 27                        ; standard.py:170:27 @[ standard.py:191:40 @[ attention_fwd.py:39:42 ] ]
	v_max3_f32 v161, v161, v162, v167
.Ltmp6:
	.loc	1 38 66                         ; attention_fwd.py:38:66
	v_cndmask_b32_e64 v182, v169, 0xff800000, s1
	s_or_b32 s1, s47, s46
	s_delay_alu instid0(SALU_CYCLE_1) | instskip(SKIP_1) | instid1(VALU_DEP_2)
	v_cndmask_b32_e64 v198, v170, 0xff800000, s1
	s_or_b32 s1, s49, s48
.Ltmp7:
	.loc	2 170 27                        ; standard.py:170:27 @[ standard.py:191:40 @[ attention_fwd.py:39:42 ] ]
	v_max3_f32 v161, v161, v181, v182
.Ltmp8:
	.loc	1 38 66                         ; attention_fwd.py:38:66
	v_cndmask_b32_e64 v171, v171, 0xff800000, s1
	s_or_b32 s1, s51, s50
	s_delay_alu instid0(SALU_CYCLE_1) | instskip(SKIP_1) | instid1(VALU_DEP_2)
	v_cndmask_b32_e64 v199, v144, 0xff800000, s1
	s_or_b32 s1, s53, s52
.Ltmp9:
	.loc	2 170 27                        ; standard.py:170:27 @[ standard.py:191:40 @[ attention_fwd.py:39:42 ] ]
	v_max3_f32 v144, v161, v198, v171
.Ltmp10:
	.loc	1 38 66                         ; attention_fwd.py:38:66
	v_cndmask_b32_e64 v200, v145, 0xff800000, s1
	s_or_b32 s1, s55, s54
	s_delay_alu instid0(SALU_CYCLE_1) | instskip(SKIP_1) | instid1(VALU_DEP_2)
	v_cndmask_b32_e64 v202, v146, 0xff800000, s1
	s_or_b32 s1, s57, s56
.Ltmp11:
	.loc	2 170 27                        ; standard.py:170:27 @[ standard.py:191:40 @[ attention_fwd.py:39:42 ] ]
	v_max3_f32 v144, v144, v199, v200
.Ltmp12:
	.loc	1 38 66                         ; attention_fwd.py:38:66
	v_cndmask_b32_e64 v203, v147, 0xff800000, s1
	s_or_b32 s1, s59, s58
	s_delay_alu instid0(SALU_CYCLE_1) | instskip(SKIP_1) | instid1(VALU_DEP_2)
	v_cndmask_b32_e64 v204, v148, 0xff800000, s1
	s_or_b32 s1, s61, s60
.Ltmp13:
	.loc	2 170 27                        ; standard.py:170:27 @[ standard.py:191:40 @[ attention_fwd.py:39:42 ] ]
	v_max3_f32 v144, v144, v202, v203
.Ltmp14:
	.loc	1 38 66                         ; attention_fwd.py:38:66
	v_cndmask_b32_e64 v205, v149, 0xff800000, s1
	s_or_b32 s1, s63, s62
	s_delay_alu instid0(SALU_CYCLE_1) | instskip(SKIP_1) | instid1(VALU_DEP_2)
	v_cndmask_b32_e64 v206, v150, 0xff800000, s1
	s_or_b32 s1, s65, s64
.Ltmp15:
	.loc	2 170 27                        ; standard.py:170:27 @[ standard.py:191:40 @[ attention_fwd.py:39:42 ] ]
	v_max3_f32 v144, v144, v204, v205
.Ltmp16:
	.loc	1 38 66                         ; attention_fwd.py:38:66
	v_cndmask_b32_e64 v207, v151, 0xff800000, s1
	s_or_b32 s1, s67, s66
	s_delay_alu instid0(SALU_CYCLE_1) | instskip(SKIP_1) | instid1(VALU_DEP_2)
	v_cndmask_b32_e64 v172, v172, 0xff800000, s1
	s_or_b32 s1, s69, s68
.Ltmp17:
	.loc	2 170 27                        ; standard.py:170:27 @[ standard.py:191:40 @[ attention_fwd.py:39:42 ] ]
	v_max3_f32 v144, v144, v206, v207
.Ltmp18:
	.loc	1 38 66                         ; attention_fwd.py:38:66
	v_cndmask_b32_e64 v147, v173, 0xff800000, s1
	s_or_b32 s1, s71, s70
	s_delay_alu instid0(SALU_CYCLE_1) | instskip(SKIP_1) | instid1(VALU_DEP_2)
	v_cndmask_b32_e64 v145, v174, 0xff800000, s1
	s_or_b32 s1, s73, s72
.Ltmp19:
	.loc	2 170 27                        ; standard.py:170:27 @[ standard.py:191:40 @[ attention_fwd.py:39:42 ] ]
	v_max3_f32 v144, v144, v172, v147
.Ltmp20:
	.loc	1 38 66                         ; attention_fwd.py:38:66
	v_cndmask_b32_e64 v146, v175, 0xff800000, s1
	s_or_b32 s1, s75, s74
	s_delay_alu instid0(SALU_CYCLE_1) | instskip(SKIP_1) | instid1(VALU_DEP_2)
	v_cndmask_b32_e64 v148, v176, 0xff800000, s1
	s_or_b32 s1, s77, s76
.Ltmp21:
	.loc	2 170 27                        ; standard.py:170:27 @[ standard.py:191:40 @[ attention_fwd.py:39:42 ] ]
	v_max3_f32 v144, v144, v145, v146
.Ltmp22:
	.loc	1 38 66                         ; attention_fwd.py:38:66
	v_cndmask_b32_e64 v151, v177, 0xff800000, s1
	s_or_b32 s1, s79, s78
	s_delay_alu instid0(SALU_CYCLE_1) | instskip(SKIP_1) | instid1(VALU_DEP_2)
	v_cndmask_b32_e64 v149, v178, 0xff800000, s1
	s_or_b32 s1, s81, s80
.Ltmp23:
	.loc	2 170 27                        ; standard.py:170:27 @[ standard.py:191:40 @[ attention_fwd.py:39:42 ] ]
	v_max3_f32 v144, v144, v148, v151
.Ltmp24:
	.loc	1 38 66                         ; attention_fwd.py:38:66
	v_cndmask_b32_e64 v150, v179, 0xff800000, s1
	s_or_b32 s1, s83, s82
	s_delay_alu instid0(SALU_CYCLE_1) | instskip(SKIP_1) | instid1(VALU_DEP_2)
	v_cndmask_b32_e64 v168, v128, 0xff800000, s1
	s_or_b32 s1, s85, s84
.Ltmp25:
	.loc	2 170 27                        ; standard.py:170:27 @[ standard.py:191:40 @[ attention_fwd.py:39:42 ] ]
	v_max3_f32 v128, v144, v149, v150
.Ltmp26:
	.loc	1 38 66                         ; attention_fwd.py:38:66
	v_cndmask_b32_e64 v197, v129, 0xff800000, s1
	s_or_b32 s1, s87, s86
	s_delay_alu instid0(SALU_CYCLE_1) | instskip(SKIP_1) | instid1(VALU_DEP_2)
	v_cndmask_b32_e64 v196, v130, 0xff800000, s1
	s_or_b32 s1, s89, s88
.Ltmp27:
	.loc	2 170 27                        ; standard.py:170:27 @[ standard.py:191:40 @[ attention_fwd.py:39:42 ] ]
	v_max3_f32 v128, v128, v168, v197
.Ltmp28:
	.loc	1 38 66                         ; attention_fwd.py:38:66
	v_cndmask_b32_e64 v195, v131, 0xff800000, s1
	s_or_b32 s1, s91, s90
	s_delay_alu instid0(SALU_CYCLE_1) | instskip(SKIP_1) | instid1(VALU_DEP_2)
	v_cndmask_b32_e64 v194, v132, 0xff800000, s1
	s_or_b32 s1, s93, s92
.Ltmp29:
	.loc	2 170 27                        ; standard.py:170:27 @[ standard.py:191:40 @[ attention_fwd.py:39:42 ] ]
	v_max3_f32 v128, v128, v196, v195
.Ltmp30:
	.loc	1 38 66                         ; attention_fwd.py:38:66
	v_cndmask_b32_e64 v169, v133, 0xff800000, s1
	s_or_b32 s1, s95, s94
	s_delay_alu instid0(SALU_CYCLE_1) | instskip(SKIP_1) | instid1(VALU_DEP_2)
	v_cndmask_b32_e64 v161, v134, 0xff800000, s1
	s_or_b32 s1, s97, s96
.Ltmp31:
	.loc	2 170 27                        ; standard.py:170:27 @[ standard.py:191:40 @[ attention_fwd.py:39:42 ] ]
	v_max3_f32 v128, v128, v194, v169
.Ltmp32:
	.loc	1 38 66                         ; attention_fwd.py:38:66
	v_cndmask_b32_e64 v144, v135, 0xff800000, s1
	s_delay_alu instid0(VALU_DEP_1) | instskip(NEXT) | instid1(VALU_DEP_1)
.Ltmp33:
	.loc	2 170 27                        ; standard.py:170:27 @[ standard.py:191:40 @[ attention_fwd.py:39:42 ] ]
	v_max3_f32 v128, v128, v161, v144
.Ltmp34:
	.loc	2 191 40                        ; standard.py:191:40 @[ attention_fwd.py:39:42 ]
	v_permlanex16_b32 v129, v128, s98, 0xfedcba98 op_sel:[1,0]
	s_delay_alu instid0(VALU_DEP_1) | instskip(NEXT) | instid1(VALU_DEP_1)
.Ltmp35:
	.loc	1 39 31                         ; attention_fwd.py:39:31
	v_max3_f32 v170, v201, v128, v129
	.loc	1 40 24                         ; attention_fwd.py:40:24
	v_sub_f32_e32 v128, v160, v170
	v_sub_f32_e32 v146, v146, v170
	;; [unrolled: 1-line block ×4, first 2 shown]
	s_delay_alu instid0(VALU_DEP_4) | instskip(SKIP_3) | instid1(VALU_DEP_4)
	v_dual_sub_f32 v150, v150, v170 :: v_dual_mul_f32 v129, 0x3fb8aa3b, v128
	v_sub_f32_e32 v168, v168, v170
	v_sub_f32_e32 v161, v161, v170
	;; [unrolled: 1-line block ×3, first 2 shown]
	.loc	1 40 19 is_stmt 0               ; attention_fwd.py:40:19
	v_cmp_gt_f32_e64 s34, 0xc2fc0000, v129
	s_delay_alu instid0(VALU_DEP_1) | instskip(NEXT) | instid1(VALU_DEP_1)
	v_cndmask_b32_e64 v129, 0, 0x42800000, s34
	v_dual_fmac_f32 v129, 0x3fb8aa3b, v128 :: v_dual_sub_f32 v128, v180, v170
	s_delay_alu instid0(VALU_DEP_1) | instskip(NEXT) | instid1(VALU_DEP_1)
	v_mul_f32_e32 v130, 0x3fb8aa3b, v128
	v_cmp_gt_f32_e64 s35, 0xc2fc0000, v130
	s_delay_alu instid0(VALU_DEP_1) | instskip(NEXT) | instid1(VALU_DEP_1)
	v_cndmask_b32_e64 v130, 0, 0x42800000, s35
	v_fmac_f32_e32 v130, 0x3fb8aa3b, v128
	v_exp_f32_e32 v128, v129
	v_cndmask_b32_e64 v129, 0, 0xffffffc0, s34
	s_waitcnt_depctr depctr_va_vdst(0)
	v_ldexp_f32 v128, v128, v129
	.loc	1 40 24                         ; attention_fwd.py:40:24
	v_sub_f32_e32 v129, v162, v170
	s_delay_alu instid0(VALU_DEP_1) | instskip(NEXT) | instid1(VALU_DEP_1)
	.loc	1 40 19                         ; attention_fwd.py:40:19
	v_mul_f32_e32 v131, 0x3fb8aa3b, v129
	v_cmp_gt_f32_e64 s34, 0xc2fc0000, v131
	s_delay_alu instid0(VALU_DEP_1) | instskip(NEXT) | instid1(VALU_DEP_1)
	v_cndmask_b32_e64 v131, 0, 0x42800000, s34
	v_fmac_f32_e32 v131, 0x3fb8aa3b, v129
	.loc	1 40 24                         ; attention_fwd.py:40:24
	v_sub_f32_e32 v129, v167, v170
	s_delay_alu instid0(VALU_DEP_1) | instskip(NEXT) | instid1(VALU_DEP_1)
	.loc	1 40 19                         ; attention_fwd.py:40:19
	v_mul_f32_e32 v132, 0x3fb8aa3b, v129
	v_cmp_gt_f32_e64 s36, 0xc2fc0000, v132
	s_delay_alu instid0(VALU_DEP_1) | instskip(NEXT) | instid1(VALU_DEP_1)
	v_cndmask_b32_e64 v132, 0, 0x42800000, s36
	v_dual_fmac_f32 v132, 0x3fb8aa3b, v129 :: v_dual_sub_f32 v129, v181, v170
	s_delay_alu instid0(VALU_DEP_1) | instskip(NEXT) | instid1(VALU_DEP_1)
	v_mul_f32_e32 v133, 0x3fb8aa3b, v129
	v_cmp_gt_f32_e64 s37, 0xc2fc0000, v133
	s_delay_alu instid0(VALU_DEP_1) | instskip(NEXT) | instid1(VALU_DEP_1)
	v_cndmask_b32_e64 v133, 0, 0x42800000, s37
	v_fmac_f32_e32 v133, 0x3fb8aa3b, v129
	v_exp_f32_e32 v129, v130
	v_cndmask_b32_e64 v130, 0, 0xffffffc0, s35
	s_waitcnt_depctr depctr_va_vdst(0)
	v_ldexp_f32 v129, v129, v130
	.loc	1 40 24                         ; attention_fwd.py:40:24
	v_sub_f32_e32 v130, v182, v170
	s_delay_alu instid0(VALU_DEP_1) | instskip(NEXT) | instid1(VALU_DEP_1)
	.loc	1 40 19                         ; attention_fwd.py:40:19
	v_mul_f32_e32 v134, 0x3fb8aa3b, v130
	v_cmp_gt_f32_e64 s35, 0xc2fc0000, v134
	s_delay_alu instid0(VALU_DEP_1) | instskip(NEXT) | instid1(VALU_DEP_1)
	v_cndmask_b32_e64 v134, 0, 0x42800000, s35
	v_fmac_f32_e32 v134, 0x3fb8aa3b, v130
	v_exp_f32_e32 v130, v131
	v_cndmask_b32_e64 v131, 0, 0xffffffc0, s34
	s_waitcnt_depctr depctr_va_vdst(0)
	v_ldexp_f32 v130, v130, v131
	v_exp_f32_e32 v131, v132
	v_cndmask_b32_e64 v132, 0, 0xffffffc0, s36
	s_waitcnt_depctr depctr_va_vdst(0)
	v_ldexp_f32 v131, v131, v132
	;; [unrolled: 4-line block ×3, first 2 shown]
	.loc	1 40 24                         ; attention_fwd.py:40:24
	v_sub_f32_e32 v133, v198, v170
	s_delay_alu instid0(VALU_DEP_1) | instskip(NEXT) | instid1(VALU_DEP_1)
	.loc	1 40 19                         ; attention_fwd.py:40:19
	v_mul_f32_e32 v135, 0x3fb8aa3b, v133
	v_cmp_gt_f32_e64 s34, 0xc2fc0000, v135
	s_delay_alu instid0(VALU_DEP_1) | instskip(NEXT) | instid1(VALU_DEP_1)
	v_cndmask_b32_e64 v135, 0, 0x42800000, s34
	v_fmac_f32_e32 v135, 0x3fb8aa3b, v133
	v_exp_f32_e32 v133, v134
	v_cndmask_b32_e64 v134, 0, 0xffffffc0, s35
	s_waitcnt_depctr depctr_va_vdst(0)
	v_ldexp_f32 v133, v133, v134
	.loc	1 40 24                         ; attention_fwd.py:40:24
	v_sub_f32_e32 v134, v171, v170
	s_delay_alu instid0(VALU_DEP_1) | instskip(NEXT) | instid1(VALU_DEP_1)
	.loc	1 40 19                         ; attention_fwd.py:40:19
	v_mul_f32_e32 v160, 0x3fb8aa3b, v134
	v_cmp_gt_f32_e64 s35, 0xc2fc0000, v160
	s_delay_alu instid0(VALU_DEP_1) | instskip(NEXT) | instid1(VALU_DEP_1)
	v_cndmask_b32_e64 v160, 0, 0x42800000, s35
	v_fmac_f32_e32 v160, 0x3fb8aa3b, v134
	.loc	1 40 24                         ; attention_fwd.py:40:24
	v_sub_f32_e32 v134, v199, v170
	s_delay_alu instid0(VALU_DEP_1) | instskip(NEXT) | instid1(VALU_DEP_1)
	.loc	1 40 19                         ; attention_fwd.py:40:19
	v_mul_f32_e32 v162, 0x3fb8aa3b, v134
	v_cmp_gt_f32_e64 s36, 0xc2fc0000, v162
	s_delay_alu instid0(VALU_DEP_1) | instskip(NEXT) | instid1(VALU_DEP_1)
	v_cndmask_b32_e64 v162, 0, 0x42800000, s36
	v_fmac_f32_e32 v162, 0x3fb8aa3b, v134
	;; [unrolled: 9-line block ×3, first 2 shown]
	v_exp_f32_e32 v134, v135
	v_cndmask_b32_e64 v135, 0, 0xffffffc0, s34
	s_waitcnt_depctr depctr_va_vdst(0)
	v_ldexp_f32 v134, v134, v135
	.loc	1 40 24                         ; attention_fwd.py:40:24
	v_sub_f32_e32 v135, v202, v170
	s_delay_alu instid0(VALU_DEP_1) | instskip(NEXT) | instid1(VALU_DEP_1)
	.loc	1 40 19                         ; attention_fwd.py:40:19
	v_mul_f32_e32 v171, 0x3fb8aa3b, v135
	v_cmp_gt_f32_e64 s34, 0xc2fc0000, v171
	s_delay_alu instid0(VALU_DEP_1) | instskip(NEXT) | instid1(VALU_DEP_1)
	v_cndmask_b32_e64 v171, 0, 0x42800000, s34
	v_fmac_f32_e32 v171, 0x3fb8aa3b, v135
	v_exp_f32_e32 v135, v160
	v_cndmask_b32_e64 v160, 0, 0xffffffc0, s35
	s_waitcnt_depctr depctr_va_vdst(0)
	v_ldexp_f32 v135, v135, v160
	v_exp_f32_e32 v160, v162
	v_cndmask_b32_e64 v162, 0, 0xffffffc0, s36
	s_waitcnt_depctr depctr_va_vdst(0)
	v_ldexp_f32 v160, v160, v162
	;; [unrolled: 4-line block ×3, first 2 shown]
	.loc	1 40 24                         ; attention_fwd.py:40:24
	v_sub_f32_e32 v162, v203, v170
	s_delay_alu instid0(VALU_DEP_1) | instskip(NEXT) | instid1(VALU_DEP_1)
	.loc	1 40 19                         ; attention_fwd.py:40:19
	v_mul_f32_e32 v167, 0x3fb8aa3b, v162
	v_cmp_gt_f32_e64 s35, 0xc2fc0000, v167
	s_delay_alu instid0(VALU_DEP_1) | instskip(NEXT) | instid1(VALU_DEP_1)
	v_cndmask_b32_e64 v167, 0, 0x42800000, s35
	v_fmac_f32_e32 v167, 0x3fb8aa3b, v162
	v_exp_f32_e32 v162, v171
	v_cndmask_b32_e64 v171, 0, 0xffffffc0, s34
	s_waitcnt_depctr depctr_va_vdst(0)
	v_ldexp_f32 v250, v162, v171
	.loc	1 40 24                         ; attention_fwd.py:40:24
	v_sub_f32_e32 v162, v204, v170
	s_delay_alu instid0(VALU_DEP_1) | instskip(NEXT) | instid1(VALU_DEP_1)
	.loc	1 40 19                         ; attention_fwd.py:40:19
	v_mul_f32_e32 v171, 0x3fb8aa3b, v162
	v_cmp_gt_f32_e64 s34, 0xc2fc0000, v171
	s_delay_alu instid0(VALU_DEP_1) | instskip(NEXT) | instid1(VALU_DEP_1)
	v_cndmask_b32_e64 v171, 0, 0x42800000, s34
	v_fmac_f32_e32 v171, 0x3fb8aa3b, v162
	.loc	1 40 24                         ; attention_fwd.py:40:24
	v_sub_f32_e32 v162, v205, v170
	s_delay_alu instid0(VALU_DEP_1) | instskip(NEXT) | instid1(VALU_DEP_1)
	.loc	1 40 19                         ; attention_fwd.py:40:19
	v_mul_f32_e32 v173, 0x3fb8aa3b, v162
	v_cmp_gt_f32_e64 s36, 0xc2fc0000, v173
	s_delay_alu instid0(VALU_DEP_1) | instskip(NEXT) | instid1(VALU_DEP_1)
	v_cndmask_b32_e64 v173, 0, 0x42800000, s36
	v_fmac_f32_e32 v173, 0x3fb8aa3b, v162
	;; [unrolled: 9-line block ×3, first 2 shown]
	v_exp_f32_e32 v162, v167
	v_cndmask_b32_e64 v167, 0, 0xffffffc0, s35
	s_waitcnt_depctr depctr_va_vdst(0)
	v_ldexp_f32 v251, v162, v167
	.loc	1 40 24                         ; attention_fwd.py:40:24
	v_sub_f32_e32 v162, v207, v170
	s_delay_alu instid0(VALU_DEP_1) | instskip(NEXT) | instid1(VALU_DEP_1)
	.loc	1 40 19                         ; attention_fwd.py:40:19
	v_mul_f32_e32 v167, 0x3fb8aa3b, v162
	v_cmp_gt_f32_e64 s35, 0xc2fc0000, v167
	s_delay_alu instid0(VALU_DEP_1) | instskip(NEXT) | instid1(VALU_DEP_1)
	v_cndmask_b32_e64 v167, 0, 0x42800000, s35
	v_fmac_f32_e32 v167, 0x3fb8aa3b, v162
	v_exp_f32_e32 v162, v171
	v_cndmask_b32_e64 v171, 0, 0xffffffc0, s34
	s_waitcnt_depctr depctr_va_vdst(0)
	v_ldexp_f32 v252, v162, v171
	v_exp_f32_e32 v162, v173
	v_cndmask_b32_e64 v171, 0, 0xffffffc0, s36
	.loc	1 40 24                         ; attention_fwd.py:40:24
	v_sub_f32_e32 v147, v147, v170
	.loc	1 40 19                         ; attention_fwd.py:40:19
	s_waitcnt_depctr depctr_va_vdst(0)
	v_ldexp_f32 v253, v162, v171
	v_exp_f32_e32 v162, v174
	v_cndmask_b32_e64 v171, 0, 0xffffffc0, s37
	s_waitcnt_depctr depctr_va_vdst(0)
	v_ldexp_f32 v254, v162, v171
	.loc	1 40 24                         ; attention_fwd.py:40:24
	v_sub_f32_e32 v162, v172, v170
	v_sub_f32_e32 v145, v145, v170
	s_delay_alu instid0(VALU_DEP_2) | instskip(NEXT) | instid1(VALU_DEP_1)
	.loc	1 40 19                         ; attention_fwd.py:40:19
	v_mul_f32_e32 v171, 0x3fb8aa3b, v162
	v_cmp_gt_f32_e64 s34, 0xc2fc0000, v171
	s_delay_alu instid0(VALU_DEP_1) | instskip(NEXT) | instid1(VALU_DEP_1)
	v_cndmask_b32_e64 v171, 0, 0x42800000, s34
	v_fmac_f32_e32 v171, 0x3fb8aa3b, v162
	v_exp_f32_e32 v162, v167
	v_cndmask_b32_e64 v167, 0, 0xffffffc0, s35
	s_waitcnt_depctr depctr_va_vdst(0)
	v_ldexp_f32 v162, v162, v167
	v_mul_f32_e32 v167, 0x3fb8aa3b, v147
	s_delay_alu instid0(VALU_DEP_1) | instskip(NEXT) | instid1(VALU_DEP_1)
	v_cmp_gt_f32_e64 s35, 0xc2fc0000, v167
	v_cndmask_b32_e64 v167, 0, 0x42800000, s35
	s_delay_alu instid0(VALU_DEP_1) | instskip(SKIP_1) | instid1(VALU_DEP_1)
	v_fmac_f32_e32 v167, 0x3fb8aa3b, v147
	v_mul_f32_e32 v147, 0x3fb8aa3b, v145
	v_cmp_gt_f32_e64 s36, 0xc2fc0000, v147
	s_delay_alu instid0(VALU_DEP_1) | instskip(NEXT) | instid1(VALU_DEP_1)
	v_cndmask_b32_e64 v147, 0, 0x42800000, s36
	v_fmac_f32_e32 v147, 0x3fb8aa3b, v145
	v_exp_f32_e32 v145, v171
	v_cndmask_b32_e64 v171, 0, 0xffffffc0, s34
	s_delay_alu instid0(VALU_DEP_2) | instskip(SKIP_3) | instid1(VALU_DEP_1)
	v_exp_f32_e32 v147, v147
	s_waitcnt_depctr depctr_va_vdst(0)
	v_ldexp_f32 v145, v145, v171
	v_mul_f32_e32 v171, 0x3fb8aa3b, v146
	v_cmp_gt_f32_e64 s34, 0xc2fc0000, v171
	s_delay_alu instid0(VALU_DEP_1) | instskip(NEXT) | instid1(VALU_DEP_1)
	v_cndmask_b32_e64 v171, 0, 0x42800000, s34
	v_fmac_f32_e32 v171, 0x3fb8aa3b, v146
	v_exp_f32_e32 v146, v167
	v_cndmask_b32_e64 v167, 0, 0xffffffc0, s35
	s_waitcnt_depctr depctr_va_vdst(0)
	v_ldexp_f32 v146, v146, v167
	v_cndmask_b32_e64 v167, 0, 0xffffffc0, s36
	s_delay_alu instid0(VALU_DEP_1) | instskip(SKIP_1) | instid1(VALU_DEP_1)
	v_ldexp_f32 v147, v147, v167
	v_mul_f32_e32 v167, 0x3fb8aa3b, v148
	v_cmp_gt_f32_e64 s35, 0xc2fc0000, v167
	s_delay_alu instid0(VALU_DEP_1) | instskip(NEXT) | instid1(VALU_DEP_1)
	v_cndmask_b32_e64 v167, 0, 0x42800000, s35
	v_fmac_f32_e32 v167, 0x3fb8aa3b, v148
	v_exp_f32_e32 v148, v171
	v_cndmask_b32_e64 v171, 0, 0xffffffc0, s34
	s_waitcnt_depctr depctr_va_vdst(0)
	v_ldexp_f32 v148, v148, v171
	.loc	1 40 24                         ; attention_fwd.py:40:24
	v_sub_f32_e32 v151, v151, v170
	s_delay_alu instid0(VALU_DEP_1) | instskip(NEXT) | instid1(VALU_DEP_1)
	.loc	1 40 19                         ; attention_fwd.py:40:19
	v_mul_f32_e32 v171, 0x3fb8aa3b, v151
	v_cmp_gt_f32_e64 s34, 0xc2fc0000, v171
	s_delay_alu instid0(VALU_DEP_1) | instskip(NEXT) | instid1(VALU_DEP_1)
	v_cndmask_b32_e64 v171, 0, 0x42800000, s34
	v_fmac_f32_e32 v171, 0x3fb8aa3b, v151
	v_mul_f32_e32 v151, 0x3fb8aa3b, v149
	s_delay_alu instid0(VALU_DEP_1) | instskip(NEXT) | instid1(VALU_DEP_1)
	v_cmp_gt_f32_e64 s36, 0xc2fc0000, v151
	v_cndmask_b32_e64 v151, 0, 0x42800000, s36
	s_delay_alu instid0(VALU_DEP_1) | instskip(SKIP_2) | instid1(VALU_DEP_2)
	v_fmac_f32_e32 v151, 0x3fb8aa3b, v149
	v_exp_f32_e32 v149, v167
	v_cndmask_b32_e64 v167, 0, 0xffffffc0, s35
	v_exp_f32_e32 v151, v151
	s_waitcnt_depctr depctr_va_vdst(0)
	v_ldexp_f32 v149, v149, v167
	v_mul_f32_e32 v167, 0x3fb8aa3b, v150
	s_delay_alu instid0(VALU_DEP_1) | instskip(NEXT) | instid1(VALU_DEP_1)
	v_cmp_gt_f32_e64 s35, 0xc2fc0000, v167
	v_cndmask_b32_e64 v167, 0, 0x42800000, s35
	s_delay_alu instid0(VALU_DEP_1) | instskip(SKIP_2) | instid1(VALU_DEP_2)
	v_fmac_f32_e32 v167, 0x3fb8aa3b, v150
	v_exp_f32_e32 v150, v171
	v_cndmask_b32_e64 v171, 0, 0xffffffc0, s34
	v_exp_f32_e32 v167, v167
	s_waitcnt_depctr depctr_va_vdst(0)
	v_ldexp_f32 v150, v150, v171
	v_cndmask_b32_e64 v171, 0, 0xffffffc0, s36
	s_delay_alu instid0(VALU_DEP_1) | instskip(SKIP_1) | instid1(VALU_DEP_1)
	v_ldexp_f32 v151, v151, v171
	v_mul_f32_e32 v171, 0x3fb8aa3b, v168
	v_cmp_gt_f32_e64 s34, 0xc2fc0000, v171
	s_delay_alu instid0(VALU_DEP_1) | instskip(NEXT) | instid1(VALU_DEP_1)
	v_cndmask_b32_e64 v171, 0, 0x42800000, s34
	v_fmac_f32_e32 v171, 0x3fb8aa3b, v168
	v_cndmask_b32_e64 v168, 0, 0xffffffc0, s35
	s_delay_alu instid0(VALU_DEP_1) | instskip(SKIP_1) | instid1(VALU_DEP_1)
	v_ldexp_f32 v168, v167, v168
	.loc	1 40 24                         ; attention_fwd.py:40:24
	v_sub_f32_e32 v167, v197, v170
	.loc	1 40 19                         ; attention_fwd.py:40:19
	v_mul_f32_e32 v172, 0x3fb8aa3b, v167
	s_delay_alu instid0(VALU_DEP_1) | instskip(NEXT) | instid1(VALU_DEP_1)
	v_cmp_gt_f32_e64 s35, 0xc2fc0000, v172
	v_cndmask_b32_e64 v172, 0, 0x42800000, s35
	s_delay_alu instid0(VALU_DEP_1) | instskip(NEXT) | instid1(VALU_DEP_1)
	v_dual_fmac_f32 v172, 0x3fb8aa3b, v167 :: v_dual_sub_f32 v167, v196, v170
	v_mul_f32_e32 v173, 0x3fb8aa3b, v167
	s_delay_alu instid0(VALU_DEP_1) | instskip(NEXT) | instid1(VALU_DEP_1)
	v_cmp_gt_f32_e64 s36, 0xc2fc0000, v173
	v_cndmask_b32_e64 v173, 0, 0x42800000, s36
	s_delay_alu instid0(VALU_DEP_1)
	v_fmac_f32_e32 v173, 0x3fb8aa3b, v167
	v_exp_f32_e32 v167, v171
	v_cndmask_b32_e64 v171, 0, 0xffffffc0, s34
	s_waitcnt_depctr depctr_va_vdst(0)
	v_ldexp_f32 v212, v167, v171
	.loc	1 40 24                         ; attention_fwd.py:40:24
	v_sub_f32_e32 v167, v195, v170
	s_delay_alu instid0(VALU_DEP_1) | instskip(NEXT) | instid1(VALU_DEP_1)
	.loc	1 40 19                         ; attention_fwd.py:40:19
	v_mul_f32_e32 v171, 0x3fb8aa3b, v167
	v_cmp_gt_f32_e64 s34, 0xc2fc0000, v171
	s_delay_alu instid0(VALU_DEP_1) | instskip(NEXT) | instid1(VALU_DEP_1)
	v_cndmask_b32_e64 v171, 0, 0x42800000, s34
	v_fmac_f32_e32 v171, 0x3fb8aa3b, v167
	v_exp_f32_e32 v167, v172
	v_cndmask_b32_e64 v172, 0, 0xffffffc0, s35
	s_waitcnt_depctr depctr_va_vdst(0)
	v_ldexp_f32 v214, v167, v172
	v_exp_f32_e32 v167, v173
	v_cndmask_b32_e64 v172, 0, 0xffffffc0, s36
	s_waitcnt_depctr depctr_va_vdst(0)
	v_ldexp_f32 v213, v167, v172
	.loc	1 40 24                         ; attention_fwd.py:40:24
	v_sub_f32_e32 v167, v194, v170
	s_delay_alu instid0(VALU_DEP_1) | instskip(NEXT) | instid1(VALU_DEP_1)
	.loc	1 40 19                         ; attention_fwd.py:40:19
	v_mul_f32_e32 v172, 0x3fb8aa3b, v167
	v_cmp_gt_f32_e64 s35, 0xc2fc0000, v172
	s_delay_alu instid0(VALU_DEP_1) | instskip(NEXT) | instid1(VALU_DEP_1)
	v_cndmask_b32_e64 v172, 0, 0x42800000, s35
	v_fmac_f32_e32 v172, 0x3fb8aa3b, v167
	v_exp_f32_e32 v167, v171
	v_cndmask_b32_e64 v171, 0, 0xffffffc0, s34
	s_waitcnt_depctr depctr_va_vdst(0)
	v_ldexp_f32 v216, v167, v171
	.loc	1 40 24                         ; attention_fwd.py:40:24
	v_sub_f32_e32 v167, v169, v170
	.loc	1 40 19                         ; attention_fwd.py:40:19
	v_cndmask_b32_e64 v171, 0, 0xffffffc0, s35
	s_delay_alu instid0(VALU_DEP_2) | instskip(NEXT) | instid1(VALU_DEP_1)
	v_mul_f32_e32 v169, 0x3fb8aa3b, v167
	v_cmp_gt_f32_e64 s34, 0xc2fc0000, v169
	s_delay_alu instid0(VALU_DEP_1) | instskip(NEXT) | instid1(VALU_DEP_1)
	v_cndmask_b32_e64 v169, 0, 0x42800000, s34
	v_fmac_f32_e32 v169, 0x3fb8aa3b, v167
	v_mul_f32_e32 v167, 0x3fb8aa3b, v161
	s_delay_alu instid0(VALU_DEP_1) | instskip(NEXT) | instid1(VALU_DEP_1)
	v_cmp_gt_f32_e64 s36, 0xc2fc0000, v167
	v_cndmask_b32_e64 v167, 0, 0x42800000, s36
	s_delay_alu instid0(VALU_DEP_1) | instskip(SKIP_4) | instid1(VALU_DEP_1)
	v_fmac_f32_e32 v167, 0x3fb8aa3b, v161
	v_exp_f32_e32 v161, v172
	s_waitcnt_depctr depctr_va_vdst(0)
	v_ldexp_f32 v218, v161, v171
	v_mul_f32_e32 v161, 0x3fb8aa3b, v144
	v_cmp_gt_f32_e64 s35, 0xc2fc0000, v161
	s_delay_alu instid0(VALU_DEP_1) | instskip(NEXT) | instid1(VALU_DEP_1)
	v_cndmask_b32_e64 v161, 0, 0x42800000, s35
	v_fmac_f32_e32 v161, 0x3fb8aa3b, v144
	v_exp_f32_e32 v144, v169
	v_cndmask_b32_e64 v169, 0, 0xffffffc0, s34
	s_waitcnt_depctr depctr_va_vdst(0)
	v_ldexp_f32 v221, v144, v169
	v_exp_f32_e32 v144, v167
	v_cndmask_b32_e64 v167, 0, 0xffffffc0, s36
	s_waitcnt_depctr depctr_va_vdst(0)
	v_ldexp_f32 v220, v144, v167
	;; [unrolled: 4-line block ×3, first 2 shown]
.Ltmp36:
	.loc	2 263 15 is_stmt 1              ; standard.py:263:15 @[ standard.py:293:36 @[ attention_fwd.py:42:38 ] ]
	v_add_f32_e32 v144, v128, v129
	s_delay_alu instid0(VALU_DEP_1) | instskip(NEXT) | instid1(VALU_DEP_1)
	v_add_f32_e32 v144, v130, v144
	v_add_f32_e32 v144, v131, v144
	s_delay_alu instid0(VALU_DEP_1) | instskip(NEXT) | instid1(VALU_DEP_1)
	v_add_f32_e32 v144, v132, v144
	v_add_f32_e32 v144, v133, v144
	s_delay_alu instid0(VALU_DEP_1) | instskip(NEXT) | instid1(VALU_DEP_1)
	v_add_f32_e32 v144, v134, v144
	v_add_f32_e32 v144, v135, v144
	s_delay_alu instid0(VALU_DEP_1) | instskip(NEXT) | instid1(VALU_DEP_1)
	v_add_f32_e32 v144, v160, v144
	v_add_f32_e32 v144, v249, v144
	s_delay_alu instid0(VALU_DEP_1) | instskip(NEXT) | instid1(VALU_DEP_1)
	v_add_f32_e32 v144, v250, v144
	v_add_f32_e32 v144, v251, v144
	s_delay_alu instid0(VALU_DEP_1) | instskip(NEXT) | instid1(VALU_DEP_1)
	v_add_f32_e32 v144, v252, v144
	v_add_f32_e32 v144, v253, v144
	s_delay_alu instid0(VALU_DEP_1) | instskip(NEXT) | instid1(VALU_DEP_1)
	v_add_f32_e32 v144, v254, v144
	v_add_f32_e32 v144, v162, v144
	s_delay_alu instid0(VALU_DEP_1) | instskip(NEXT) | instid1(VALU_DEP_1)
	v_add_f32_e32 v144, v145, v144
	v_add_f32_e32 v144, v146, v144
	s_delay_alu instid0(VALU_DEP_1) | instskip(NEXT) | instid1(VALU_DEP_1)
	v_add_f32_e32 v144, v147, v144
	v_add_f32_e32 v144, v148, v144
	s_delay_alu instid0(VALU_DEP_1) | instskip(NEXT) | instid1(VALU_DEP_1)
	v_add_f32_e32 v144, v149, v144
	v_add_f32_e32 v144, v150, v144
	s_delay_alu instid0(VALU_DEP_1) | instskip(NEXT) | instid1(VALU_DEP_1)
	v_add_f32_e32 v144, v151, v144
	v_add_f32_e32 v144, v168, v144
	s_delay_alu instid0(VALU_DEP_1) | instskip(NEXT) | instid1(VALU_DEP_1)
	v_add_f32_e32 v144, v212, v144
	v_add_f32_e32 v144, v214, v144
	s_delay_alu instid0(VALU_DEP_1) | instskip(NEXT) | instid1(VALU_DEP_1)
	v_add_f32_e32 v144, v213, v144
	v_add_f32_e32 v144, v216, v144
	s_delay_alu instid0(VALU_DEP_1) | instskip(NEXT) | instid1(VALU_DEP_1)
	v_add_f32_e32 v144, v218, v144
	v_add_f32_e32 v144, v221, v144
	s_delay_alu instid0(VALU_DEP_1) | instskip(NEXT) | instid1(VALU_DEP_1)
	v_add_f32_e32 v144, v220, v144
	v_add_f32_e32 v169, v222, v144
	s_delay_alu instid0(VALU_DEP_1)
.Ltmp37:
	.loc	2 293 36                        ; standard.py:293:36 @[ attention_fwd.py:42:38 ]
	v_permlanex16_b32 v194, v169, s98, 0xfedcba98 op_sel:[1,0]
.Ltmp38:
	.loc	1 45 20                         ; attention_fwd.py:45:20
	s_and_saveexec_b32 s1, vcc_lo
	s_cbranch_execz .LBB0_325
; %bb.324:                              ;   in Loop: Header=BB0_259 Depth=1
	.loc	1 0 20 is_stmt 0                ; attention_fwd.py:0:20
	scratch_load_b32 v144, off, off offset:368 ; 4-byte Folded Reload
	s_waitcnt vmcnt(0)
	v_add_nc_u32_e32 v171, s103, v144
	s_delay_alu instid0(VALU_DEP_1) | instskip(NEXT) | instid1(VALU_DEP_1)
	v_ashrrev_i32_e32 v172, 31, v171
	v_lshlrev_b64 v[171:172], 1, v[171:172]
	s_delay_alu instid0(VALU_DEP_1) | instskip(NEXT) | instid1(VALU_DEP_1)
	v_add_co_u32 v171, vcc_lo, v154, v171
	v_add_co_ci_u32_e64 v172, null, v155, v172, vcc_lo
	.loc	1 45 20                         ; attention_fwd.py:45:20
	global_load_u16 v193, v[171:172], off
.LBB0_325:                              ;   in Loop: Header=BB0_259 Depth=1
	.loc	1 0 20                          ; attention_fwd.py:0:20
	s_or_b32 exec_lo, exec_lo, s1
	v_dual_mov_b32 v195, 0 :: v_dual_mov_b32 v196, 0
	.loc	1 45 20                         ; attention_fwd.py:45:20
	s_and_saveexec_b32 s1, s2
	s_cbranch_execz .LBB0_327
; %bb.326:                              ;   in Loop: Header=BB0_259 Depth=1
	.loc	1 44 39 is_stmt 1               ; attention_fwd.py:44:39
	scratch_load_b32 v144, off, off offset:360 ; 4-byte Folded Reload
	s_waitcnt vmcnt(0)
	v_add_nc_u32_e32 v171, s103, v144
	s_delay_alu instid0(VALU_DEP_1) | instskip(NEXT) | instid1(VALU_DEP_1)
	.loc	1 44 21 is_stmt 0               ; attention_fwd.py:44:21
	v_ashrrev_i32_e32 v172, 31, v171
	.loc	1 44 51                         ; attention_fwd.py:44:51
	v_lshlrev_b64 v[171:172], 1, v[171:172]
	s_delay_alu instid0(VALU_DEP_1) | instskip(NEXT) | instid1(VALU_DEP_1)
	v_add_co_u32 v171, vcc_lo, v154, v171
	v_add_co_ci_u32_e64 v172, null, v155, v172, vcc_lo
	.loc	1 45 20 is_stmt 1               ; attention_fwd.py:45:20
	global_load_u16 v196, v[171:172], off
.LBB0_327:                              ;   in Loop: Header=BB0_259 Depth=1
	.loc	1 0 20 is_stmt 0                ; attention_fwd.py:0:20
	s_or_b32 exec_lo, exec_lo, s1
	s_delay_alu instid0(SALU_CYCLE_1)
	.loc	1 45 20                         ; attention_fwd.py:45:20
	s_mov_b32 s1, exec_lo
	v_readlane_b32 s2, v255, 5
	v_mov_b32_e32 v179, v226
	s_mov_b64 s[42:43], s[10:11]
	s_mov_b64 s[40:41], s[8:9]
	;; [unrolled: 1-line block ×3, first 2 shown]
	s_and_b32 s2, s1, s2
	s_mov_b64 s[36:37], s[4:5]
	s_mov_b32 exec_lo, s2
	s_cbranch_execz .LBB0_329
; %bb.328:                              ;   in Loop: Header=BB0_259 Depth=1
	.loc	1 44 39 is_stmt 1               ; attention_fwd.py:44:39
	scratch_load_b32 v144, off, off offset:352 ; 4-byte Folded Reload
	s_waitcnt vmcnt(0)
	v_add_nc_u32_e32 v171, s103, v144
	s_delay_alu instid0(VALU_DEP_1) | instskip(NEXT) | instid1(VALU_DEP_1)
	.loc	1 44 21 is_stmt 0               ; attention_fwd.py:44:21
	v_ashrrev_i32_e32 v172, 31, v171
	.loc	1 44 51                         ; attention_fwd.py:44:51
	v_lshlrev_b64 v[171:172], 1, v[171:172]
	s_delay_alu instid0(VALU_DEP_1) | instskip(NEXT) | instid1(VALU_DEP_1)
	v_add_co_u32 v171, vcc_lo, v154, v171
	v_add_co_ci_u32_e64 v172, null, v155, v172, vcc_lo
	.loc	1 45 20 is_stmt 1               ; attention_fwd.py:45:20
	global_load_u16 v195, v[171:172], off
.LBB0_329:                              ;   in Loop: Header=BB0_259 Depth=1
	.loc	1 0 20 is_stmt 0                ; attention_fwd.py:0:20
	s_or_b32 exec_lo, exec_lo, s1
	v_dual_mov_b32 v198, 0 :: v_dual_mov_b32 v197, 0
	.loc	1 45 20                         ; attention_fwd.py:45:20
	s_and_saveexec_b32 s1, s0
	s_cbranch_execz .LBB0_331
; %bb.330:                              ;   in Loop: Header=BB0_259 Depth=1
	.loc	1 44 39 is_stmt 1               ; attention_fwd.py:44:39
	scratch_load_b32 v144, off, off offset:344 ; 4-byte Folded Reload
	s_waitcnt vmcnt(0)
	v_add_nc_u32_e32 v171, s103, v144
	s_delay_alu instid0(VALU_DEP_1) | instskip(NEXT) | instid1(VALU_DEP_1)
	.loc	1 44 21 is_stmt 0               ; attention_fwd.py:44:21
	v_ashrrev_i32_e32 v172, 31, v171
	.loc	1 44 51                         ; attention_fwd.py:44:51
	v_lshlrev_b64 v[171:172], 1, v[171:172]
	s_delay_alu instid0(VALU_DEP_1) | instskip(NEXT) | instid1(VALU_DEP_1)
	v_add_co_u32 v171, vcc_lo, v154, v171
	v_add_co_ci_u32_e64 v172, null, v155, v172, vcc_lo
	.loc	1 45 20 is_stmt 1               ; attention_fwd.py:45:20
	global_load_u16 v197, v[171:172], off
.LBB0_331:                              ;   in Loop: Header=BB0_259 Depth=1
	.loc	1 0 20 is_stmt 0                ; attention_fwd.py:0:20
	s_or_b32 exec_lo, exec_lo, s1
	.loc	1 45 20                         ; attention_fwd.py:45:20
	s_and_saveexec_b32 s1, s104
	s_cbranch_execz .LBB0_333
; %bb.332:                              ;   in Loop: Header=BB0_259 Depth=1
	.loc	1 44 39 is_stmt 1               ; attention_fwd.py:44:39
	scratch_load_b32 v144, off, off offset:336 ; 4-byte Folded Reload
	s_waitcnt vmcnt(0)
	v_add_nc_u32_e32 v171, s103, v144
	s_delay_alu instid0(VALU_DEP_1) | instskip(NEXT) | instid1(VALU_DEP_1)
	.loc	1 44 21 is_stmt 0               ; attention_fwd.py:44:21
	v_ashrrev_i32_e32 v172, 31, v171
	.loc	1 44 51                         ; attention_fwd.py:44:51
	v_lshlrev_b64 v[171:172], 1, v[171:172]
	s_delay_alu instid0(VALU_DEP_1) | instskip(NEXT) | instid1(VALU_DEP_1)
	v_add_co_u32 v171, vcc_lo, v154, v171
	v_add_co_ci_u32_e64 v172, null, v155, v172, vcc_lo
	.loc	1 45 20 is_stmt 1               ; attention_fwd.py:45:20
	global_load_u16 v198, v[171:172], off
.LBB0_333:                              ;   in Loop: Header=BB0_259 Depth=1
	.loc	1 0 20 is_stmt 0                ; attention_fwd.py:0:20
	s_or_b32 exec_lo, exec_lo, s1
	v_dual_mov_b32 v199, 0 :: v_dual_mov_b32 v200, 0
	.loc	1 45 20                         ; attention_fwd.py:45:20
	s_and_saveexec_b32 s1, s101
	s_cbranch_execz .LBB0_335
; %bb.334:                              ;   in Loop: Header=BB0_259 Depth=1
	.loc	1 44 39 is_stmt 1               ; attention_fwd.py:44:39
	scratch_load_b32 v144, off, off offset:328 ; 4-byte Folded Reload
	s_waitcnt vmcnt(0)
	v_add_nc_u32_e32 v171, s103, v144
	s_delay_alu instid0(VALU_DEP_1) | instskip(NEXT) | instid1(VALU_DEP_1)
	.loc	1 44 21 is_stmt 0               ; attention_fwd.py:44:21
	v_ashrrev_i32_e32 v172, 31, v171
	.loc	1 44 51                         ; attention_fwd.py:44:51
	v_lshlrev_b64 v[171:172], 1, v[171:172]
	s_delay_alu instid0(VALU_DEP_1) | instskip(NEXT) | instid1(VALU_DEP_1)
	v_add_co_u32 v171, vcc_lo, v154, v171
	v_add_co_ci_u32_e64 v172, null, v155, v172, vcc_lo
	.loc	1 45 20 is_stmt 1               ; attention_fwd.py:45:20
	global_load_u16 v200, v[171:172], off
.LBB0_335:                              ;   in Loop: Header=BB0_259 Depth=1
	.loc	1 0 20 is_stmt 0                ; attention_fwd.py:0:20
	s_or_b32 exec_lo, exec_lo, s1
	.loc	1 45 20                         ; attention_fwd.py:45:20
	s_and_saveexec_b32 s1, s3
	s_cbranch_execz .LBB0_337
; %bb.336:                              ;   in Loop: Header=BB0_259 Depth=1
	.loc	1 44 39 is_stmt 1               ; attention_fwd.py:44:39
	scratch_load_b32 v144, off, off offset:320 ; 4-byte Folded Reload
	s_waitcnt vmcnt(0)
	v_add_nc_u32_e32 v171, s103, v144
	s_delay_alu instid0(VALU_DEP_1) | instskip(NEXT) | instid1(VALU_DEP_1)
	.loc	1 44 21 is_stmt 0               ; attention_fwd.py:44:21
	v_ashrrev_i32_e32 v172, 31, v171
	.loc	1 44 51                         ; attention_fwd.py:44:51
	v_lshlrev_b64 v[171:172], 1, v[171:172]
	s_delay_alu instid0(VALU_DEP_1) | instskip(NEXT) | instid1(VALU_DEP_1)
	v_add_co_u32 v171, vcc_lo, v154, v171
	v_add_co_ci_u32_e64 v172, null, v155, v172, vcc_lo
	.loc	1 45 20 is_stmt 1               ; attention_fwd.py:45:20
	global_load_u16 v199, v[171:172], off
.LBB0_337:                              ;   in Loop: Header=BB0_259 Depth=1
	.loc	1 0 20 is_stmt 0                ; attention_fwd.py:0:20
	s_or_b32 exec_lo, exec_lo, s1
	v_dual_mov_b32 v203, 0 :: v_dual_mov_b32 v202, 0
	.loc	1 45 20                         ; attention_fwd.py:45:20
	v_readlane_b32 s0, v255, 6
	s_and_saveexec_b32 s1, s0
	s_cbranch_execz .LBB0_339
; %bb.338:                              ;   in Loop: Header=BB0_259 Depth=1
	.loc	1 44 39 is_stmt 1               ; attention_fwd.py:44:39
	scratch_load_b32 v144, off, off offset:312 ; 4-byte Folded Reload
	s_waitcnt vmcnt(0)
	v_add_nc_u32_e32 v171, s103, v144
	s_delay_alu instid0(VALU_DEP_1) | instskip(NEXT) | instid1(VALU_DEP_1)
	.loc	1 44 21 is_stmt 0               ; attention_fwd.py:44:21
	v_ashrrev_i32_e32 v172, 31, v171
	.loc	1 44 51                         ; attention_fwd.py:44:51
	v_lshlrev_b64 v[171:172], 1, v[171:172]
	s_delay_alu instid0(VALU_DEP_1) | instskip(NEXT) | instid1(VALU_DEP_1)
	v_add_co_u32 v171, vcc_lo, v154, v171
	v_add_co_ci_u32_e64 v172, null, v155, v172, vcc_lo
	.loc	1 45 20 is_stmt 1               ; attention_fwd.py:45:20
	global_load_u16 v202, v[171:172], off
.LBB0_339:                              ;   in Loop: Header=BB0_259 Depth=1
	.loc	1 0 20 is_stmt 0                ; attention_fwd.py:0:20
	s_or_b32 exec_lo, exec_lo, s1
	.loc	1 45 20                         ; attention_fwd.py:45:20
	v_readlane_b32 s0, v255, 7
	s_and_saveexec_b32 s1, s0
	s_cbranch_execz .LBB0_341
; %bb.340:                              ;   in Loop: Header=BB0_259 Depth=1
	.loc	1 44 39 is_stmt 1               ; attention_fwd.py:44:39
	scratch_load_b32 v144, off, off offset:304 ; 4-byte Folded Reload
	s_waitcnt vmcnt(0)
	v_add_nc_u32_e32 v171, s103, v144
	s_delay_alu instid0(VALU_DEP_1) | instskip(NEXT) | instid1(VALU_DEP_1)
	.loc	1 44 21 is_stmt 0               ; attention_fwd.py:44:21
	v_ashrrev_i32_e32 v172, 31, v171
	.loc	1 44 51                         ; attention_fwd.py:44:51
	v_lshlrev_b64 v[171:172], 1, v[171:172]
	s_delay_alu instid0(VALU_DEP_1) | instskip(NEXT) | instid1(VALU_DEP_1)
	v_add_co_u32 v171, vcc_lo, v154, v171
	v_add_co_ci_u32_e64 v172, null, v155, v172, vcc_lo
	.loc	1 45 20 is_stmt 1               ; attention_fwd.py:45:20
	global_load_u16 v203, v[171:172], off
.LBB0_341:                              ;   in Loop: Header=BB0_259 Depth=1
	.loc	1 0 20 is_stmt 0                ; attention_fwd.py:0:20
	s_or_b32 exec_lo, exec_lo, s1
	v_dual_mov_b32 v204, 0 :: v_dual_mov_b32 v205, 0
	.loc	1 45 20                         ; attention_fwd.py:45:20
	v_readlane_b32 s0, v255, 8
	s_and_saveexec_b32 s1, s0
	s_cbranch_execz .LBB0_343
; %bb.342:                              ;   in Loop: Header=BB0_259 Depth=1
	.loc	1 44 39 is_stmt 1               ; attention_fwd.py:44:39
	scratch_load_b32 v144, off, off offset:296 ; 4-byte Folded Reload
	s_waitcnt vmcnt(0)
	v_add_nc_u32_e32 v171, s103, v144
	s_delay_alu instid0(VALU_DEP_1) | instskip(NEXT) | instid1(VALU_DEP_1)
	.loc	1 44 21 is_stmt 0               ; attention_fwd.py:44:21
	v_ashrrev_i32_e32 v172, 31, v171
	.loc	1 44 51                         ; attention_fwd.py:44:51
	v_lshlrev_b64 v[171:172], 1, v[171:172]
	s_delay_alu instid0(VALU_DEP_1) | instskip(NEXT) | instid1(VALU_DEP_1)
	v_add_co_u32 v171, vcc_lo, v154, v171
	v_add_co_ci_u32_e64 v172, null, v155, v172, vcc_lo
	.loc	1 45 20 is_stmt 1               ; attention_fwd.py:45:20
	global_load_u16 v205, v[171:172], off
.LBB0_343:                              ;   in Loop: Header=BB0_259 Depth=1
	.loc	1 0 20 is_stmt 0                ; attention_fwd.py:0:20
	s_or_b32 exec_lo, exec_lo, s1
	.loc	1 45 20                         ; attention_fwd.py:45:20
	v_readlane_b32 s0, v255, 9
	s_and_saveexec_b32 s1, s0
	s_cbranch_execz .LBB0_345
; %bb.344:                              ;   in Loop: Header=BB0_259 Depth=1
	.loc	1 44 39 is_stmt 1               ; attention_fwd.py:44:39
	scratch_load_b32 v144, off, off offset:288 ; 4-byte Folded Reload
	s_waitcnt vmcnt(0)
	v_add_nc_u32_e32 v171, s103, v144
	s_delay_alu instid0(VALU_DEP_1) | instskip(NEXT) | instid1(VALU_DEP_1)
	.loc	1 44 21 is_stmt 0               ; attention_fwd.py:44:21
	v_ashrrev_i32_e32 v172, 31, v171
	.loc	1 44 51                         ; attention_fwd.py:44:51
	v_lshlrev_b64 v[171:172], 1, v[171:172]
	s_delay_alu instid0(VALU_DEP_1) | instskip(NEXT) | instid1(VALU_DEP_1)
	v_add_co_u32 v171, vcc_lo, v154, v171
	v_add_co_ci_u32_e64 v172, null, v155, v172, vcc_lo
	.loc	1 45 20 is_stmt 1               ; attention_fwd.py:45:20
	global_load_u16 v204, v[171:172], off
.LBB0_345:                              ;   in Loop: Header=BB0_259 Depth=1
	.loc	1 0 20 is_stmt 0                ; attention_fwd.py:0:20
	s_or_b32 exec_lo, exec_lo, s1
	v_dual_mov_b32 v207, 0 :: v_dual_mov_b32 v206, 0
	.loc	1 45 20                         ; attention_fwd.py:45:20
	s_and_saveexec_b32 s1, s12
	s_cbranch_execz .LBB0_347
; %bb.346:                              ;   in Loop: Header=BB0_259 Depth=1
	.loc	1 44 39 is_stmt 1               ; attention_fwd.py:44:39
	scratch_load_b32 v144, off, off offset:280 ; 4-byte Folded Reload
	s_waitcnt vmcnt(0)
	v_add_nc_u32_e32 v171, s103, v144
	s_delay_alu instid0(VALU_DEP_1) | instskip(NEXT) | instid1(VALU_DEP_1)
	.loc	1 44 21 is_stmt 0               ; attention_fwd.py:44:21
	v_ashrrev_i32_e32 v172, 31, v171
	.loc	1 44 51                         ; attention_fwd.py:44:51
	v_lshlrev_b64 v[171:172], 1, v[171:172]
	s_delay_alu instid0(VALU_DEP_1) | instskip(NEXT) | instid1(VALU_DEP_1)
	v_add_co_u32 v171, vcc_lo, v154, v171
	v_add_co_ci_u32_e64 v172, null, v155, v172, vcc_lo
	.loc	1 45 20 is_stmt 1               ; attention_fwd.py:45:20
	global_load_u16 v206, v[171:172], off
.LBB0_347:                              ;   in Loop: Header=BB0_259 Depth=1
	.loc	1 0 20 is_stmt 0                ; attention_fwd.py:0:20
	s_or_b32 exec_lo, exec_lo, s1
	.loc	1 45 20                         ; attention_fwd.py:45:20
	s_and_saveexec_b32 s1, s13
	s_cbranch_execz .LBB0_349
; %bb.348:                              ;   in Loop: Header=BB0_259 Depth=1
	.loc	1 44 39 is_stmt 1               ; attention_fwd.py:44:39
	scratch_load_b32 v144, off, off offset:272 ; 4-byte Folded Reload
	s_waitcnt vmcnt(0)
	v_add_nc_u32_e32 v171, s103, v144
	s_delay_alu instid0(VALU_DEP_1) | instskip(NEXT) | instid1(VALU_DEP_1)
	.loc	1 44 21 is_stmt 0               ; attention_fwd.py:44:21
	v_ashrrev_i32_e32 v172, 31, v171
	.loc	1 44 51                         ; attention_fwd.py:44:51
	v_lshlrev_b64 v[171:172], 1, v[171:172]
	s_delay_alu instid0(VALU_DEP_1) | instskip(NEXT) | instid1(VALU_DEP_1)
	v_add_co_u32 v171, vcc_lo, v154, v171
	v_add_co_ci_u32_e64 v172, null, v155, v172, vcc_lo
	.loc	1 45 20 is_stmt 1               ; attention_fwd.py:45:20
	global_load_u16 v207, v[171:172], off
.LBB0_349:                              ;   in Loop: Header=BB0_259 Depth=1
	.loc	1 0 20 is_stmt 0                ; attention_fwd.py:0:20
	s_or_b32 exec_lo, exec_lo, s1
	v_dual_mov_b32 v208, 0 :: v_dual_mov_b32 v209, 0
	.loc	1 45 20                         ; attention_fwd.py:45:20
	s_and_saveexec_b32 s1, s14
	s_cbranch_execz .LBB0_351
; %bb.350:                              ;   in Loop: Header=BB0_259 Depth=1
	.loc	1 44 39 is_stmt 1               ; attention_fwd.py:44:39
	scratch_load_b32 v144, off, off offset:264 ; 4-byte Folded Reload
	s_waitcnt vmcnt(0)
	v_add_nc_u32_e32 v171, s103, v144
	s_delay_alu instid0(VALU_DEP_1) | instskip(NEXT) | instid1(VALU_DEP_1)
	.loc	1 44 21 is_stmt 0               ; attention_fwd.py:44:21
	v_ashrrev_i32_e32 v172, 31, v171
	.loc	1 44 51                         ; attention_fwd.py:44:51
	v_lshlrev_b64 v[171:172], 1, v[171:172]
	s_delay_alu instid0(VALU_DEP_1) | instskip(NEXT) | instid1(VALU_DEP_1)
	v_add_co_u32 v171, vcc_lo, v154, v171
	v_add_co_ci_u32_e64 v172, null, v155, v172, vcc_lo
	.loc	1 45 20 is_stmt 1               ; attention_fwd.py:45:20
	global_load_u16 v209, v[171:172], off
.LBB0_351:                              ;   in Loop: Header=BB0_259 Depth=1
	.loc	1 0 20 is_stmt 0                ; attention_fwd.py:0:20
	s_or_b32 exec_lo, exec_lo, s1
	.loc	1 45 20                         ; attention_fwd.py:45:20
	;; [unrolled: 43-line block ×3, first 2 shown]
	s_and_saveexec_b32 s1, s17
	s_cbranch_execz .LBB0_357
; %bb.356:                              ;   in Loop: Header=BB0_259 Depth=1
	.loc	1 44 39 is_stmt 1               ; attention_fwd.py:44:39
	scratch_load_b32 v144, off, off offset:240 ; 4-byte Folded Reload
	s_waitcnt vmcnt(0)
	v_add_nc_u32_e32 v171, s103, v144
	s_delay_alu instid0(VALU_DEP_1) | instskip(NEXT) | instid1(VALU_DEP_1)
	.loc	1 44 21 is_stmt 0               ; attention_fwd.py:44:21
	v_ashrrev_i32_e32 v172, 31, v171
	.loc	1 44 51                         ; attention_fwd.py:44:51
	v_lshlrev_b64 v[171:172], 1, v[171:172]
	s_delay_alu instid0(VALU_DEP_1) | instskip(NEXT) | instid1(VALU_DEP_1)
	v_add_co_u32 v171, vcc_lo, v154, v171
	v_add_co_ci_u32_e64 v172, null, v155, v172, vcc_lo
	.loc	1 45 20 is_stmt 1               ; attention_fwd.py:45:20
	global_load_u16 v211, v[171:172], off
.LBB0_357:                              ;   in Loop: Header=BB0_259 Depth=1
	.loc	1 0 20 is_stmt 0                ; attention_fwd.py:0:20
	s_or_b32 exec_lo, exec_lo, s1
	v_mov_b32_e32 v215, 0
	v_mov_b32_e32 v217, 0
	.loc	1 45 20                         ; attention_fwd.py:45:20
	s_and_saveexec_b32 s1, s18
	s_cbranch_execz .LBB0_359
; %bb.358:                              ;   in Loop: Header=BB0_259 Depth=1
	.loc	1 44 39 is_stmt 1               ; attention_fwd.py:44:39
	scratch_load_b32 v144, off, off offset:232 ; 4-byte Folded Reload
	s_waitcnt vmcnt(0)
	v_add_nc_u32_e32 v171, s103, v144
	s_delay_alu instid0(VALU_DEP_1) | instskip(NEXT) | instid1(VALU_DEP_1)
	.loc	1 44 21 is_stmt 0               ; attention_fwd.py:44:21
	v_ashrrev_i32_e32 v172, 31, v171
	.loc	1 44 51                         ; attention_fwd.py:44:51
	v_lshlrev_b64 v[171:172], 1, v[171:172]
	s_delay_alu instid0(VALU_DEP_1) | instskip(NEXT) | instid1(VALU_DEP_1)
	v_add_co_u32 v171, vcc_lo, v154, v171
	v_add_co_ci_u32_e64 v172, null, v155, v172, vcc_lo
	.loc	1 45 20 is_stmt 1               ; attention_fwd.py:45:20
	global_load_u16 v217, v[171:172], off
.LBB0_359:                              ;   in Loop: Header=BB0_259 Depth=1
	.loc	1 0 20 is_stmt 0                ; attention_fwd.py:0:20
	s_or_b32 exec_lo, exec_lo, s1
	.loc	1 45 20                         ; attention_fwd.py:45:20
	s_and_saveexec_b32 s1, s19
	s_cbranch_execz .LBB0_361
; %bb.360:                              ;   in Loop: Header=BB0_259 Depth=1
	.loc	1 44 39 is_stmt 1               ; attention_fwd.py:44:39
	scratch_load_b32 v144, off, off offset:224 ; 4-byte Folded Reload
	s_waitcnt vmcnt(0)
	v_add_nc_u32_e32 v171, s103, v144
	s_delay_alu instid0(VALU_DEP_1) | instskip(NEXT) | instid1(VALU_DEP_1)
	.loc	1 44 21 is_stmt 0               ; attention_fwd.py:44:21
	v_ashrrev_i32_e32 v172, 31, v171
	.loc	1 44 51                         ; attention_fwd.py:44:51
	v_lshlrev_b64 v[171:172], 1, v[171:172]
	s_delay_alu instid0(VALU_DEP_1) | instskip(NEXT) | instid1(VALU_DEP_1)
	v_add_co_u32 v171, vcc_lo, v154, v171
	v_add_co_ci_u32_e64 v172, null, v155, v172, vcc_lo
	.loc	1 45 20 is_stmt 1               ; attention_fwd.py:45:20
	global_load_u16 v215, v[171:172], off
.LBB0_361:                              ;   in Loop: Header=BB0_259 Depth=1
	.loc	1 0 20 is_stmt 0                ; attention_fwd.py:0:20
	s_or_b32 exec_lo, exec_lo, s1
	v_mov_b32_e32 v223, 0
	v_mov_b32_e32 v219, 0
	.loc	1 45 20                         ; attention_fwd.py:45:20
	s_and_saveexec_b32 s1, s20
	s_cbranch_execz .LBB0_363
; %bb.362:                              ;   in Loop: Header=BB0_259 Depth=1
	.loc	1 44 39 is_stmt 1               ; attention_fwd.py:44:39
	scratch_load_b32 v144, off, off offset:216 ; 4-byte Folded Reload
	s_waitcnt vmcnt(0)
	v_add_nc_u32_e32 v171, s103, v144
	s_delay_alu instid0(VALU_DEP_1) | instskip(NEXT) | instid1(VALU_DEP_1)
	.loc	1 44 21 is_stmt 0               ; attention_fwd.py:44:21
	v_ashrrev_i32_e32 v172, 31, v171
	.loc	1 44 51                         ; attention_fwd.py:44:51
	v_lshlrev_b64 v[171:172], 1, v[171:172]
	s_delay_alu instid0(VALU_DEP_1) | instskip(NEXT) | instid1(VALU_DEP_1)
	v_add_co_u32 v171, vcc_lo, v154, v171
	v_add_co_ci_u32_e64 v172, null, v155, v172, vcc_lo
	.loc	1 45 20 is_stmt 1               ; attention_fwd.py:45:20
	global_load_u16 v219, v[171:172], off
.LBB0_363:                              ;   in Loop: Header=BB0_259 Depth=1
	.loc	1 0 20 is_stmt 0                ; attention_fwd.py:0:20
	s_or_b32 exec_lo, exec_lo, s1
	.loc	1 45 20                         ; attention_fwd.py:45:20
	s_and_saveexec_b32 s1, s21
	s_cbranch_execz .LBB0_365
; %bb.364:                              ;   in Loop: Header=BB0_259 Depth=1
	.loc	1 44 39 is_stmt 1               ; attention_fwd.py:44:39
	scratch_load_b32 v144, off, off offset:208 ; 4-byte Folded Reload
	s_waitcnt vmcnt(0)
	v_add_nc_u32_e32 v171, s103, v144
	s_delay_alu instid0(VALU_DEP_1) | instskip(NEXT) | instid1(VALU_DEP_1)
	.loc	1 44 21 is_stmt 0               ; attention_fwd.py:44:21
	v_ashrrev_i32_e32 v172, 31, v171
	.loc	1 44 51                         ; attention_fwd.py:44:51
	v_lshlrev_b64 v[171:172], 1, v[171:172]
	s_delay_alu instid0(VALU_DEP_1) | instskip(NEXT) | instid1(VALU_DEP_1)
	v_add_co_u32 v171, vcc_lo, v154, v171
	v_add_co_ci_u32_e64 v172, null, v155, v172, vcc_lo
	.loc	1 45 20 is_stmt 1               ; attention_fwd.py:45:20
	global_load_u16 v223, v[171:172], off
.LBB0_365:                              ;   in Loop: Header=BB0_259 Depth=1
	.loc	1 0 20 is_stmt 0                ; attention_fwd.py:0:20
	s_or_b32 exec_lo, exec_lo, s1
	v_dual_mov_b32 v224, 0 :: v_dual_mov_b32 v225, 0
	.loc	1 45 20                         ; attention_fwd.py:45:20
	s_and_saveexec_b32 s1, s22
	s_cbranch_execz .LBB0_367
; %bb.366:                              ;   in Loop: Header=BB0_259 Depth=1
	.loc	1 44 39 is_stmt 1               ; attention_fwd.py:44:39
	scratch_load_b32 v144, off, off offset:200 ; 4-byte Folded Reload
	s_waitcnt vmcnt(0)
	v_add_nc_u32_e32 v171, s103, v144
	s_delay_alu instid0(VALU_DEP_1) | instskip(NEXT) | instid1(VALU_DEP_1)
	.loc	1 44 21 is_stmt 0               ; attention_fwd.py:44:21
	v_ashrrev_i32_e32 v172, 31, v171
	.loc	1 44 51                         ; attention_fwd.py:44:51
	v_lshlrev_b64 v[171:172], 1, v[171:172]
	s_delay_alu instid0(VALU_DEP_1) | instskip(NEXT) | instid1(VALU_DEP_1)
	v_add_co_u32 v171, vcc_lo, v154, v171
	v_add_co_ci_u32_e64 v172, null, v155, v172, vcc_lo
	.loc	1 45 20 is_stmt 1               ; attention_fwd.py:45:20
	global_load_u16 v225, v[171:172], off
.LBB0_367:                              ;   in Loop: Header=BB0_259 Depth=1
	.loc	1 0 20 is_stmt 0                ; attention_fwd.py:0:20
	s_or_b32 exec_lo, exec_lo, s1
	.loc	1 45 20                         ; attention_fwd.py:45:20
	s_and_saveexec_b32 s1, s23
	s_cbranch_execz .LBB0_369
; %bb.368:                              ;   in Loop: Header=BB0_259 Depth=1
	.loc	1 44 39 is_stmt 1               ; attention_fwd.py:44:39
	scratch_load_b32 v144, off, off offset:192 ; 4-byte Folded Reload
	s_waitcnt vmcnt(0)
	v_add_nc_u32_e32 v171, s103, v144
	s_delay_alu instid0(VALU_DEP_1) | instskip(NEXT) | instid1(VALU_DEP_1)
	.loc	1 44 21 is_stmt 0               ; attention_fwd.py:44:21
	v_ashrrev_i32_e32 v172, 31, v171
	.loc	1 44 51                         ; attention_fwd.py:44:51
	v_lshlrev_b64 v[171:172], 1, v[171:172]
	s_delay_alu instid0(VALU_DEP_1) | instskip(NEXT) | instid1(VALU_DEP_1)
	v_add_co_u32 v171, vcc_lo, v154, v171
	v_add_co_ci_u32_e64 v172, null, v155, v172, vcc_lo
	.loc	1 45 20 is_stmt 1               ; attention_fwd.py:45:20
	global_load_u16 v224, v[171:172], off
.LBB0_369:                              ;   in Loop: Header=BB0_259 Depth=1
	.loc	1 0 20 is_stmt 0                ; attention_fwd.py:0:20
	s_or_b32 exec_lo, exec_lo, s1
	v_dual_mov_b32 v227, 0 :: v_dual_mov_b32 v226, 0
	;; [unrolled: 43-line block ×5, first 2 shown]
	.loc	1 45 20                         ; attention_fwd.py:45:20
	s_and_saveexec_b32 s1, s30
	s_cbranch_execnz .LBB0_384
; %bb.382:                              ;   in Loop: Header=BB0_259 Depth=1
	.loc	1 0 20                          ; attention_fwd.py:0:20
	s_or_b32 exec_lo, exec_lo, s1
	.loc	1 45 20                         ; attention_fwd.py:45:20
	s_and_saveexec_b32 s1, s31
	s_cbranch_execnz .LBB0_385
.LBB0_383:                              ;   in Loop: Header=BB0_259 Depth=1
	.loc	1 0 20                          ; attention_fwd.py:0:20
	s_or_b32 exec_lo, exec_lo, s1
	v_mov_b32_e32 v144, 0
	.loc	1 45 20                         ; attention_fwd.py:45:20
	s_and_saveexec_b32 s1, s33
	s_cbranch_execz .LBB0_258
	s_branch .LBB0_386
.LBB0_384:                              ;   in Loop: Header=BB0_259 Depth=1
	.loc	1 44 39 is_stmt 1               ; attention_fwd.py:44:39
	scratch_load_b32 v144, off, off offset:136 ; 4-byte Folded Reload
	s_waitcnt vmcnt(0)
	v_add_nc_u32_e32 v171, s103, v144
	s_delay_alu instid0(VALU_DEP_1) | instskip(NEXT) | instid1(VALU_DEP_1)
	.loc	1 44 21 is_stmt 0               ; attention_fwd.py:44:21
	v_ashrrev_i32_e32 v172, 31, v171
	.loc	1 44 51                         ; attention_fwd.py:44:51
	v_lshlrev_b64 v[171:172], 1, v[171:172]
	s_delay_alu instid0(VALU_DEP_1) | instskip(NEXT) | instid1(VALU_DEP_1)
	v_add_co_u32 v171, vcc_lo, v154, v171
	v_add_co_ci_u32_e64 v172, null, v155, v172, vcc_lo
	.loc	1 45 20 is_stmt 1               ; attention_fwd.py:45:20
	global_load_u16 v161, v[171:172], off
	s_or_b32 exec_lo, exec_lo, s1
	s_and_saveexec_b32 s1, s31
	s_cbranch_execz .LBB0_383
.LBB0_385:                              ;   in Loop: Header=BB0_259 Depth=1
	.loc	1 44 39                         ; attention_fwd.py:44:39
	scratch_load_b32 v144, off, off offset:128 ; 4-byte Folded Reload
	s_waitcnt vmcnt(0)
	v_add_nc_u32_e32 v171, s103, v144
	s_delay_alu instid0(VALU_DEP_1) | instskip(NEXT) | instid1(VALU_DEP_1)
	.loc	1 44 21 is_stmt 0               ; attention_fwd.py:44:21
	v_ashrrev_i32_e32 v172, 31, v171
	.loc	1 44 51                         ; attention_fwd.py:44:51
	v_lshlrev_b64 v[171:172], 1, v[171:172]
	s_delay_alu instid0(VALU_DEP_1) | instskip(NEXT) | instid1(VALU_DEP_1)
	v_add_co_u32 v171, vcc_lo, v154, v171
	v_add_co_ci_u32_e64 v172, null, v155, v172, vcc_lo
	.loc	1 45 20 is_stmt 1               ; attention_fwd.py:45:20
	global_load_u16 v232, v[171:172], off
	s_or_b32 exec_lo, exec_lo, s1
	v_mov_b32_e32 v144, 0
	s_and_saveexec_b32 s1, s33
	s_cbranch_execz .LBB0_258
.LBB0_386:                              ;   in Loop: Header=BB0_259 Depth=1
	.loc	1 44 21                         ; attention_fwd.py:44:21
	scratch_load_b32 v144, off, off offset:120 ; 4-byte Folded Reload
	s_waitcnt vmcnt(0)
	v_add_nc_u32_e32 v171, s103, v144
	s_delay_alu instid0(VALU_DEP_1) | instskip(NEXT) | instid1(VALU_DEP_1)
	v_ashrrev_i32_e32 v172, 31, v171
	.loc	1 44 51 is_stmt 0               ; attention_fwd.py:44:51
	v_lshlrev_b64 v[171:172], 1, v[171:172]
	s_delay_alu instid0(VALU_DEP_1) | instskip(NEXT) | instid1(VALU_DEP_1)
	v_add_co_u32 v171, vcc_lo, v154, v171
	v_add_co_ci_u32_e64 v172, null, v155, v172, vcc_lo
	.loc	1 45 20 is_stmt 1               ; attention_fwd.py:45:20
	global_load_u16 v144, v[171:172], off
	s_branch .LBB0_258
.LBB0_387:
	.loc	1 0 20 is_stmt 0                ; attention_fwd.py:0:20
	v_dual_mov_b32 v63, 0 :: v_dual_mov_b32 v170, 0xff800000
	v_readlane_b32 s0, v255, 0
	v_readlane_b32 s1, v255, 1
	s_delay_alu instid0(VALU_DEP_3)
	v_mov_b32_e32 v62, v63
	v_mov_b32_e32 v61, v63
	;; [unrolled: 1-line block ×64, first 2 shown]
	s_branch .LBB0_389
.LBB0_388:                              ; %Flow
	v_dual_mov_b32 v198, v187 :: v_dual_mov_b32 v197, v136
	scratch_load_b32 v187, off, off offset:380 ; 4-byte Folded Reload
	v_readlane_b32 s0, v255, 0
	v_readlane_b32 s1, v255, 1
	v_dual_mov_b32 v202, v192 :: v_dual_mov_b32 v205, v191
	v_dual_mov_b32 v204, v190 :: v_dual_mov_b32 v199, v184
	s_load_b64 s[68:69], s[0:1], 0x18
	v_dual_mov_b32 v206, v188 :: v_dual_mov_b32 v203, v186
	v_dual_mov_b32 v200, v189 :: v_dual_mov_b32 v195, v212
	;; [unrolled: 1-line block ×11, first 2 shown]
	v_mov_b32_e32 v160, v178
	v_mov_b32_e32 v132, v176
	;; [unrolled: 1-line block ×4, first 2 shown]
	v_readlane_b32 s41, v255, 2
.LBB0_389:                              ; %Flow923
	s_load_b64 s[64:65], s[0:1], 0x3c
	s_delay_alu instid0(VALU_DEP_1)
	.loc	1 31 32 is_stmt 1               ; attention_fwd.py:31:32
	s_add_i32 s1, s41, 0xbf
	.loc	1 35 32                         ; attention_fwd.py:35:32
	ds_store_b16 v137, v129 offset:16384
	ds_store_b16 v137, v135 offset:20480
	;; [unrolled: 1-line block ×24, first 2 shown]
	.loc	1 31 32                         ; attention_fwd.py:31:32
	s_ashr_i32 s0, s1, 31
	v_dual_mov_b32 v136, 0 :: v_dual_mov_b32 v137, 0
	s_lshr_b32 s0, s0, 26
	v_dual_mov_b32 v138, 0 :: v_dual_mov_b32 v139, 0
	s_add_i32 s0, s1, s0
	v_dual_mov_b32 v140, 0 :: v_dual_mov_b32 v141, 0
	s_ashr_i32 s0, s0, 6
	v_dual_mov_b32 v142, 0 :: v_dual_mov_b32 v143, 0
	s_max_i32 s8, s0, 1
	v_dual_mov_b32 v144, 0 :: v_dual_mov_b32 v145, 0
	v_dual_mov_b32 v146, 0 :: v_dual_mov_b32 v147, 0
	;; [unrolled: 1-line block ×12, first 2 shown]
	s_cmp_gt_i32 s1, 63
	.loc	1 35 32                         ; attention_fwd.py:35:32
	s_mov_b32 s0, 0
	.loc	1 31 32                         ; attention_fwd.py:31:32
	s_cselect_b32 s66, -1, 0
	s_cmp_lt_i32 s1, 64
	.loc	1 35 32                         ; attention_fwd.py:35:32
	ds_store_b16 v166, v161 offset:19456
	ds_store_b16 v166, v168 offset:23552
	;; [unrolled: 1-line block ×8, first 2 shown]
	s_waitcnt vmcnt(0) lgkmcnt(0)
	s_waitcnt_vscnt null, 0x0
	s_barrier
	buffer_gl0_inv
	s_cbranch_scc1 .LBB0_391
; %bb.390:
	.loc	1 35 23 is_stmt 0               ; attention_fwd.py:35:23
	s_mov_b32 s1, s0
	s_mov_b32 s2, s0
	;; [unrolled: 1-line block ×7, first 2 shown]
	.loc	1 35 32                         ; attention_fwd.py:35:32
	v_add_nc_u32_e32 v128, 0, v179
	v_xad_u32 v129, v179, 16, 0
	ds_load_b128 v[144:147], v128 offset:16384
	ds_load_b128 v[148:151], v129 offset:16384
	;; [unrolled: 1-line block ×7, first 2 shown]
	v_mov_b32_e32 v162, v179
	ds_load_b128 v[179:182], v128 offset:28672
	.loc	1 35 23                         ; attention_fwd.py:35:23
	v_dual_mov_b32 v135, s7 :: v_dual_mov_b32 v134, s6
	v_mov_b32_e32 v131, s3
	v_dual_mov_b32 v133, s5 :: v_dual_mov_b32 v132, s4
	v_dual_mov_b32 v129, s1 :: v_dual_mov_b32 v130, s2
	v_mov_b32_e32 v128, s0
	.loc	1 35 32                         ; attention_fwd.py:35:32
	v_xad_u32 v160, v162, 32, 0
	v_xad_u32 v161, v162, 48, 0
	.loc	1 35 23                         ; attention_fwd.py:35:23
	s_waitcnt lgkmcnt(6)
	s_delay_alu instid0(VALU_DEP_3)
	v_wmma_f32_16x16x16_f16 v[136:143], v[144:151], v[120:127], v[128:135]
	s_waitcnt lgkmcnt(4)
	v_wmma_f32_16x16x16_f16 v[144:151], v[152:159], v[120:127], v[128:135]
	s_waitcnt lgkmcnt(2)
	;; [unrolled: 2-line block ×3, first 2 shown]
	v_wmma_f32_16x16x16_f16 v[128:135], v[179:186], v[120:127], v[128:135]
	.loc	1 35 32                         ; attention_fwd.py:35:32
	ds_load_b128 v[120:123], v160 offset:16384
	ds_load_b128 v[124:127], v161 offset:16384
	;; [unrolled: 1-line block ×4, first 2 shown]
	.loc	1 35 23                         ; attention_fwd.py:35:23
	s_waitcnt lgkmcnt(2)
	v_wmma_f32_16x16x16_f16 v[136:143], v[120:127], v[112:119], v[136:143]
	s_waitcnt lgkmcnt(0)
	v_wmma_f32_16x16x16_f16 v[144:151], v[171:178], v[112:119], v[144:151]
	.loc	1 35 32                         ; attention_fwd.py:35:32
	ds_load_b128 v[120:123], v160 offset:24576
	ds_load_b128 v[124:127], v161 offset:24576
	ds_load_b128 v[175:178], v161 offset:28672
	ds_load_b128 v[171:174], v160 offset:28672
	v_xad_u32 v160, v162, 64, 0
	v_xad_u32 v161, 0x50, v162, 0
	.loc	1 35 23                         ; attention_fwd.py:35:23
	s_waitcnt lgkmcnt(2)
	v_wmma_f32_16x16x16_f16 v[152:159], v[120:127], v[112:119], v[152:159]
	s_waitcnt lgkmcnt(0)
	v_wmma_f32_16x16x16_f16 v[128:135], v[171:178], v[112:119], v[128:135]
	.loc	1 35 32                         ; attention_fwd.py:35:32
	ds_load_b128 v[112:115], v160 offset:16384
	ds_load_b128 v[116:119], v161 offset:16384
	ds_load_b128 v[124:127], v161 offset:20480
	ds_load_b128 v[120:123], v160 offset:20480
	.loc	1 35 23                         ; attention_fwd.py:35:23
	s_waitcnt lgkmcnt(2)
	v_wmma_f32_16x16x16_f16 v[136:143], v[112:119], v[104:111], v[136:143]
	s_waitcnt lgkmcnt(0)
	v_wmma_f32_16x16x16_f16 v[144:151], v[120:127], v[104:111], v[144:151]
	.loc	1 35 32                         ; attention_fwd.py:35:32
	ds_load_b128 v[112:115], v160 offset:24576
	ds_load_b128 v[116:119], v161 offset:24576
	ds_load_b128 v[124:127], v161 offset:28672
	ds_load_b128 v[120:123], v160 offset:28672
	.loc	1 35 23                         ; attention_fwd.py:35:23
	s_waitcnt lgkmcnt(2)
	v_wmma_f32_16x16x16_f16 v[152:159], v[112:119], v[104:111], v[152:159]
	s_waitcnt lgkmcnt(0)
	v_wmma_f32_16x16x16_f16 v[128:135], v[120:127], v[104:111], v[128:135]
	.loc	1 35 32                         ; attention_fwd.py:35:32
	v_xad_u32 v120, 0x60, v162, 0
	v_xad_u32 v121, 0x70, v162, 0
	ds_load_b128 v[104:107], v120 offset:16384
	ds_load_b128 v[108:111], v121 offset:16384
	ds_load_b128 v[116:119], v121 offset:20480
	ds_load_b128 v[112:115], v120 offset:20480
	.loc	1 35 23                         ; attention_fwd.py:35:23
	s_waitcnt lgkmcnt(2)
	v_wmma_f32_16x16x16_f16 v[136:143], v[104:111], v[96:103], v[136:143]
	s_waitcnt lgkmcnt(0)
	v_wmma_f32_16x16x16_f16 v[144:151], v[112:119], v[96:103], v[144:151]
	.loc	1 35 32                         ; attention_fwd.py:35:32
	ds_load_b128 v[104:107], v120 offset:24576
	ds_load_b128 v[108:111], v121 offset:24576
	ds_load_b128 v[116:119], v121 offset:28672
	ds_load_b128 v[112:115], v120 offset:28672
	.loc	1 35 23                         ; attention_fwd.py:35:23
	s_waitcnt lgkmcnt(2)
	v_wmma_f32_16x16x16_f16 v[152:159], v[104:111], v[96:103], v[152:159]
	s_waitcnt lgkmcnt(0)
	v_wmma_f32_16x16x16_f16 v[128:135], v[112:119], v[96:103], v[128:135]
	.loc	1 35 32                         ; attention_fwd.py:35:32
	v_xad_u32 v112, 0x80, v162, 0
	v_xad_u32 v113, 0x90, v162, 0
	ds_load_b128 v[96:99], v112 offset:16384
	ds_load_b128 v[100:103], v113 offset:16384
	ds_load_b128 v[108:111], v113 offset:20480
	ds_load_b128 v[104:107], v112 offset:20480
	.loc	1 35 23                         ; attention_fwd.py:35:23
	s_waitcnt lgkmcnt(2)
	v_wmma_f32_16x16x16_f16 v[136:143], v[96:103], v[88:95], v[136:143]
	s_waitcnt lgkmcnt(0)
	v_wmma_f32_16x16x16_f16 v[144:151], v[104:111], v[88:95], v[144:151]
	.loc	1 35 32                         ; attention_fwd.py:35:32
	ds_load_b128 v[96:99], v112 offset:24576
	ds_load_b128 v[100:103], v113 offset:24576
	ds_load_b128 v[108:111], v113 offset:28672
	ds_load_b128 v[104:107], v112 offset:28672
	.loc	1 35 23                         ; attention_fwd.py:35:23
	s_waitcnt lgkmcnt(2)
	v_wmma_f32_16x16x16_f16 v[152:159], v[96:103], v[88:95], v[152:159]
	s_waitcnt lgkmcnt(0)
	v_wmma_f32_16x16x16_f16 v[128:135], v[104:111], v[88:95], v[128:135]
	.loc	1 35 32                         ; attention_fwd.py:35:32
	v_xad_u32 v104, 0xa0, v162, 0
	v_xad_u32 v105, 0xb0, v162, 0
	ds_load_b128 v[88:91], v104 offset:16384
	ds_load_b128 v[92:95], v105 offset:16384
	ds_load_b128 v[100:103], v105 offset:20480
	ds_load_b128 v[96:99], v104 offset:20480
	.loc	1 35 23                         ; attention_fwd.py:35:23
	s_waitcnt lgkmcnt(2)
	v_wmma_f32_16x16x16_f16 v[136:143], v[88:95], v[80:87], v[136:143]
	s_waitcnt lgkmcnt(0)
	v_wmma_f32_16x16x16_f16 v[144:151], v[96:103], v[80:87], v[144:151]
	.loc	1 35 32                         ; attention_fwd.py:35:32
	ds_load_b128 v[88:91], v104 offset:24576
	ds_load_b128 v[92:95], v105 offset:24576
	ds_load_b128 v[100:103], v105 offset:28672
	ds_load_b128 v[96:99], v104 offset:28672
	.loc	1 35 23                         ; attention_fwd.py:35:23
	s_waitcnt lgkmcnt(2)
	v_wmma_f32_16x16x16_f16 v[152:159], v[88:95], v[80:87], v[152:159]
	s_waitcnt lgkmcnt(0)
	v_wmma_f32_16x16x16_f16 v[128:135], v[96:103], v[80:87], v[128:135]
	.loc	1 35 32                         ; attention_fwd.py:35:32
	v_xad_u32 v96, 0xc0, v162, 0
	v_xad_u32 v97, 0xd0, v162, 0
	ds_load_b128 v[80:83], v96 offset:16384
	ds_load_b128 v[84:87], v97 offset:16384
	ds_load_b128 v[92:95], v97 offset:20480
	ds_load_b128 v[88:91], v96 offset:20480
	.loc	1 35 23                         ; attention_fwd.py:35:23
	s_waitcnt lgkmcnt(2)
	v_wmma_f32_16x16x16_f16 v[136:143], v[80:87], v[72:79], v[136:143]
	s_waitcnt lgkmcnt(0)
	v_wmma_f32_16x16x16_f16 v[144:151], v[88:95], v[72:79], v[144:151]
	.loc	1 35 32                         ; attention_fwd.py:35:32
	ds_load_b128 v[80:83], v96 offset:24576
	ds_load_b128 v[84:87], v97 offset:24576
	ds_load_b128 v[92:95], v97 offset:28672
	ds_load_b128 v[88:91], v96 offset:28672
	.loc	1 35 23                         ; attention_fwd.py:35:23
	s_waitcnt lgkmcnt(2)
	v_wmma_f32_16x16x16_f16 v[152:159], v[80:87], v[72:79], v[152:159]
	s_waitcnt lgkmcnt(0)
	v_wmma_f32_16x16x16_f16 v[128:135], v[88:95], v[72:79], v[128:135]
	.loc	1 35 32                         ; attention_fwd.py:35:32
	v_xad_u32 v88, 0xe0, v162, 0
	v_xad_u32 v89, 0xf0, v162, 0
	ds_load_b128 v[72:75], v88 offset:16384
	ds_load_b128 v[76:79], v89 offset:16384
	;; [unrolled: 1-line block ×4, first 2 shown]
	.loc	1 35 23                         ; attention_fwd.py:35:23
	s_waitcnt lgkmcnt(2)
	v_wmma_f32_16x16x16_f16 v[136:143], v[72:79], v[64:71], v[136:143]
	s_waitcnt lgkmcnt(0)
	v_wmma_f32_16x16x16_f16 v[144:151], v[80:87], v[64:71], v[144:151]
	.loc	1 35 32                         ; attention_fwd.py:35:32
	ds_load_b128 v[72:75], v88 offset:24576
	ds_load_b128 v[76:79], v89 offset:24576
	;; [unrolled: 1-line block ×4, first 2 shown]
	.loc	1 35 23                         ; attention_fwd.py:35:23
	s_waitcnt lgkmcnt(2)
	v_wmma_f32_16x16x16_f16 v[152:159], v[72:79], v[64:71], v[152:159]
	s_waitcnt lgkmcnt(0)
	v_wmma_f32_16x16x16_f16 v[128:135], v[80:87], v[64:71], v[128:135]
.LBB0_391:
	.loc	1 32 27 is_stmt 1               ; attention_fwd.py:32:27
	s_clause 0x1                            ; 8-byte Folded Reload
	scratch_load_b32 v65, off, off offset:76
	scratch_load_b32 v95, off, off offset:80
	.loc	1 31 32                         ; attention_fwd.py:31:32
	s_lshl_b32 s0, s8, 6
	.loc	1 35 38                         ; attention_fwd.py:35:38
	v_dual_mul_f32 v96, s102, v136 :: v_dual_mul_f32 v97, s102, v137
	.loc	1 31 32                         ; attention_fwd.py:31:32
	s_sub_i32 s0, s0, 64
	.loc	1 35 38                         ; attention_fwd.py:35:38
	v_dual_mul_f32 v98, s102, v138 :: v_dual_mul_f32 v99, s102, v139
	v_dual_mul_f32 v100, s102, v140 :: v_dual_mul_f32 v101, s102, v141
	;; [unrolled: 1-line block ×15, first 2 shown]
	.loc	1 32 27                         ; attention_fwd.py:32:27
	s_waitcnt vmcnt(1)
	v_or_b32_e32 v64, s0, v65
	.loc	1 20 54                         ; attention_fwd.py:20:54
	v_or_b32_e32 v112, 8, v65
	v_or_b32_e32 v113, 10, v65
	;; [unrolled: 1-line block ×27, first 2 shown]
	.loc	1 32 27                         ; attention_fwd.py:32:27
	v_or_b32_e32 v65, 2, v64
	s_waitcnt vmcnt(0)
	v_or_b32_e32 v95, 62, v95
	v_or_b32_e32 v66, 4, v64
	;; [unrolled: 1-line block ×31, first 2 shown]
	.loc	1 36 40                         ; attention_fwd.py:36:40
	v_cmp_le_i32_e32 vcc_lo, s100, v64
	v_cmp_le_i32_e64 s0, s100, v65
	.loc	1 38 45                         ; attention_fwd.py:38:45
	v_cmp_lt_i32_e64 s31, v163, v64
	v_cmp_lt_i32_e64 s33, v163, v65
	.loc	1 36 40                         ; attention_fwd.py:36:40
	v_cmp_le_i32_e64 s1, s100, v66
	.loc	1 38 45                         ; attention_fwd.py:38:45
	v_cmp_lt_i32_e64 s34, v163, v66
	.loc	1 36 40                         ; attention_fwd.py:36:40
	v_cmp_le_i32_e64 s2, s100, v67
	.loc	1 38 45                         ; attention_fwd.py:38:45
	v_cmp_lt_i32_e64 s35, v163, v67
	.loc	1 38 66 is_stmt 0               ; attention_fwd.py:38:66
	s_or_b32 s31, s31, vcc_lo
	s_or_b32 s0, s33, s0
	v_cndmask_b32_e64 v64, v96, 0xff800000, s31
	v_cndmask_b32_e64 v65, v97, 0xff800000, s0
	.loc	1 36 40 is_stmt 1               ; attention_fwd.py:36:40
	v_cmp_le_i32_e64 s3, s100, v68
	.loc	1 38 45                         ; attention_fwd.py:38:45
	v_cmp_lt_i32_e64 s36, v163, v68
	.loc	1 38 66 is_stmt 0               ; attention_fwd.py:38:66
	s_or_b32 s0, s34, s1
	.loc	1 36 40 is_stmt 1               ; attention_fwd.py:36:40
	v_cmp_le_i32_e64 s4, s100, v69
	.loc	1 38 45                         ; attention_fwd.py:38:45
	v_cmp_lt_i32_e64 s37, v163, v69
	.loc	1 38 66 is_stmt 0               ; attention_fwd.py:38:66
	v_cndmask_b32_e64 v66, v98, 0xff800000, s0
	s_or_b32 s0, s35, s2
.Ltmp39:
	.loc	2 170 27 is_stmt 1              ; standard.py:170:27 @[ standard.py:191:40 @[ attention_fwd.py:39:42 ] ]
	v_max_f32_e32 v68, v64, v65
.Ltmp40:
	.loc	1 38 66                         ; attention_fwd.py:38:66
	v_cndmask_b32_e64 v67, v99, 0xff800000, s0
	.loc	1 36 40                         ; attention_fwd.py:36:40
	v_cmp_le_i32_e64 s5, s100, v70
	.loc	1 38 45                         ; attention_fwd.py:38:45
	v_cmp_lt_i32_e64 s38, v163, v70
	.loc	1 38 66 is_stmt 0               ; attention_fwd.py:38:66
	s_or_b32 s0, s36, s3
	.loc	1 36 40 is_stmt 1               ; attention_fwd.py:36:40
	v_cmp_le_i32_e64 s6, s100, v71
	.loc	1 38 45                         ; attention_fwd.py:38:45
	v_cmp_lt_i32_e64 s39, v163, v71
	.loc	1 38 66 is_stmt 0               ; attention_fwd.py:38:66
	v_cndmask_b32_e64 v69, v100, 0xff800000, s0
	s_or_b32 s0, s37, s4
.Ltmp41:
	.loc	2 170 27 is_stmt 1              ; standard.py:170:27 @[ standard.py:191:40 @[ attention_fwd.py:39:42 ] ]
	v_max3_f32 v68, v68, v66, v67
.Ltmp42:
	.loc	1 38 66                         ; attention_fwd.py:38:66
	v_cndmask_b32_e64 v70, v101, 0xff800000, s0
	.loc	1 36 40                         ; attention_fwd.py:36:40
	v_cmp_le_i32_e64 s7, s100, v72
	.loc	1 38 45                         ; attention_fwd.py:38:45
	v_cmp_lt_i32_e64 s40, v163, v72
	.loc	1 38 66 is_stmt 0               ; attention_fwd.py:38:66
	s_or_b32 s0, s38, s5
	.loc	1 36 40 is_stmt 1               ; attention_fwd.py:36:40
	v_cmp_le_i32_e64 s8, s100, v73
	.loc	1 38 45                         ; attention_fwd.py:38:45
	v_cmp_lt_i32_e64 s41, v163, v73
	.loc	1 38 66 is_stmt 0               ; attention_fwd.py:38:66
	v_cndmask_b32_e64 v71, v102, 0xff800000, s0
	s_or_b32 s0, s39, s6
.Ltmp43:
	.loc	2 170 27 is_stmt 1              ; standard.py:170:27 @[ standard.py:191:40 @[ attention_fwd.py:39:42 ] ]
	v_max3_f32 v68, v68, v69, v70
.Ltmp44:
	.loc	1 38 66                         ; attention_fwd.py:38:66
	v_cndmask_b32_e64 v73, v103, 0xff800000, s0
	.loc	1 36 40                         ; attention_fwd.py:36:40
	v_cmp_le_i32_e64 s9, s100, v74
	.loc	1 38 45                         ; attention_fwd.py:38:45
	v_cmp_lt_i32_e64 s42, v163, v74
	.loc	1 38 66 is_stmt 0               ; attention_fwd.py:38:66
	s_or_b32 s0, s40, s7
	.loc	1 36 40 is_stmt 1               ; attention_fwd.py:36:40
	v_cmp_le_i32_e64 s10, s100, v75
	.loc	1 38 45                         ; attention_fwd.py:38:45
	v_cmp_lt_i32_e64 s43, v163, v75
	.loc	1 38 66 is_stmt 0               ; attention_fwd.py:38:66
	v_cndmask_b32_e64 v74, v104, 0xff800000, s0
	s_or_b32 s0, s41, s8
.Ltmp45:
	.loc	2 170 27 is_stmt 1              ; standard.py:170:27 @[ standard.py:191:40 @[ attention_fwd.py:39:42 ] ]
	v_max3_f32 v68, v68, v71, v73
.Ltmp46:
	.loc	1 38 66                         ; attention_fwd.py:38:66
	v_cndmask_b32_e64 v75, v105, 0xff800000, s0
	.loc	1 36 40                         ; attention_fwd.py:36:40
	v_cmp_le_i32_e64 s11, s100, v76
	.loc	1 38 45                         ; attention_fwd.py:38:45
	v_cmp_lt_i32_e64 s44, v163, v76
	.loc	1 38 66 is_stmt 0               ; attention_fwd.py:38:66
	s_or_b32 s0, s42, s9
	.loc	1 36 40 is_stmt 1               ; attention_fwd.py:36:40
	v_cmp_le_i32_e64 s12, s100, v77
	.loc	1 38 45                         ; attention_fwd.py:38:45
	v_cmp_lt_i32_e64 s45, v163, v77
	.loc	1 38 66 is_stmt 0               ; attention_fwd.py:38:66
	v_cndmask_b32_e64 v76, v106, 0xff800000, s0
	s_or_b32 s0, s43, s10
.Ltmp47:
	.loc	2 170 27 is_stmt 1              ; standard.py:170:27 @[ standard.py:191:40 @[ attention_fwd.py:39:42 ] ]
	v_max3_f32 v68, v68, v74, v75
.Ltmp48:
	.loc	1 38 66                         ; attention_fwd.py:38:66
	v_cndmask_b32_e64 v77, v107, 0xff800000, s0
	.loc	1 36 40                         ; attention_fwd.py:36:40
	v_cmp_le_i32_e64 s13, s100, v78
	.loc	1 38 45                         ; attention_fwd.py:38:45
	v_cmp_lt_i32_e64 s46, v163, v78
	.loc	1 38 66 is_stmt 0               ; attention_fwd.py:38:66
	s_or_b32 s0, s44, s11
	.loc	1 36 40 is_stmt 1               ; attention_fwd.py:36:40
	v_cmp_le_i32_e64 s14, s100, v79
	.loc	1 38 45                         ; attention_fwd.py:38:45
	v_cmp_lt_i32_e64 s47, v163, v79
	.loc	1 38 66 is_stmt 0               ; attention_fwd.py:38:66
	v_cndmask_b32_e64 v78, v108, 0xff800000, s0
	s_or_b32 s0, s45, s12
.Ltmp49:
	.loc	2 170 27 is_stmt 1              ; standard.py:170:27 @[ standard.py:191:40 @[ attention_fwd.py:39:42 ] ]
	v_max3_f32 v68, v68, v76, v77
.Ltmp50:
	.loc	1 38 66                         ; attention_fwd.py:38:66
	v_cndmask_b32_e64 v79, v109, 0xff800000, s0
	.loc	1 36 40                         ; attention_fwd.py:36:40
	v_cmp_le_i32_e64 s15, s100, v80
	.loc	1 38 45                         ; attention_fwd.py:38:45
	v_cmp_lt_i32_e64 s48, v163, v80
	.loc	1 38 66 is_stmt 0               ; attention_fwd.py:38:66
	s_or_b32 s0, s46, s13
	.loc	1 36 40 is_stmt 1               ; attention_fwd.py:36:40
	v_cmp_le_i32_e64 s16, s100, v81
	.loc	1 38 45                         ; attention_fwd.py:38:45
	v_cmp_lt_i32_e64 s49, v163, v81
	.loc	1 38 66 is_stmt 0               ; attention_fwd.py:38:66
	v_cndmask_b32_e64 v80, v110, 0xff800000, s0
	s_or_b32 s0, s47, s14
.Ltmp51:
	.loc	2 170 27 is_stmt 1              ; standard.py:170:27 @[ standard.py:191:40 @[ attention_fwd.py:39:42 ] ]
	v_max3_f32 v68, v68, v78, v79
.Ltmp52:
	.loc	1 38 66                         ; attention_fwd.py:38:66
	v_cndmask_b32_e64 v81, v111, 0xff800000, s0
	.loc	1 36 40                         ; attention_fwd.py:36:40
	v_cmp_le_i32_e64 s17, s100, v82
	.loc	1 38 45                         ; attention_fwd.py:38:45
	v_cmp_lt_i32_e64 s50, v163, v82
	.loc	1 38 66 is_stmt 0               ; attention_fwd.py:38:66
	s_or_b32 s0, s48, s15
	.loc	1 36 40 is_stmt 1               ; attention_fwd.py:36:40
	v_cmp_le_i32_e64 s18, s100, v83
	.loc	1 38 45                         ; attention_fwd.py:38:45
	v_cmp_lt_i32_e64 s51, v163, v83
	.loc	1 38 66 is_stmt 0               ; attention_fwd.py:38:66
	v_cndmask_b32_e64 v82, v136, 0xff800000, s0
	s_or_b32 s0, s49, s16
.Ltmp53:
	.loc	2 170 27 is_stmt 1              ; standard.py:170:27 @[ standard.py:191:40 @[ attention_fwd.py:39:42 ] ]
	v_max3_f32 v68, v68, v80, v81
.Ltmp54:
	.loc	1 38 66                         ; attention_fwd.py:38:66
	v_cndmask_b32_e64 v83, v137, 0xff800000, s0
	.loc	1 36 40                         ; attention_fwd.py:36:40
	v_cmp_le_i32_e64 s19, s100, v84
	.loc	1 38 45                         ; attention_fwd.py:38:45
	v_cmp_lt_i32_e64 s52, v163, v84
	.loc	1 38 66 is_stmt 0               ; attention_fwd.py:38:66
	s_or_b32 s0, s50, s17
	.loc	1 36 40 is_stmt 1               ; attention_fwd.py:36:40
	v_cmp_le_i32_e64 s20, s100, v85
	.loc	1 38 45                         ; attention_fwd.py:38:45
	v_cmp_lt_i32_e64 s53, v163, v85
	.loc	1 38 66 is_stmt 0               ; attention_fwd.py:38:66
	v_cndmask_b32_e64 v84, v138, 0xff800000, s0
	s_or_b32 s0, s51, s18
.Ltmp55:
	.loc	2 170 27 is_stmt 1              ; standard.py:170:27 @[ standard.py:191:40 @[ attention_fwd.py:39:42 ] ]
	v_max3_f32 v68, v68, v82, v83
.Ltmp56:
	.loc	1 38 66                         ; attention_fwd.py:38:66
	v_cndmask_b32_e64 v85, v139, 0xff800000, s0
	.loc	1 36 40                         ; attention_fwd.py:36:40
	v_cmp_le_i32_e64 s21, s100, v86
	.loc	1 38 45                         ; attention_fwd.py:38:45
	v_cmp_lt_i32_e64 s54, v163, v86
	.loc	1 38 66 is_stmt 0               ; attention_fwd.py:38:66
	s_or_b32 s0, s52, s19
	.loc	1 36 40 is_stmt 1               ; attention_fwd.py:36:40
	v_cmp_le_i32_e64 s22, s100, v87
	.loc	1 38 45                         ; attention_fwd.py:38:45
	v_cmp_lt_i32_e64 s55, v163, v87
	.loc	1 38 66 is_stmt 0               ; attention_fwd.py:38:66
	v_cndmask_b32_e64 v86, v140, 0xff800000, s0
	s_or_b32 s0, s53, s20
.Ltmp57:
	.loc	2 170 27 is_stmt 1              ; standard.py:170:27 @[ standard.py:191:40 @[ attention_fwd.py:39:42 ] ]
	v_max3_f32 v68, v68, v84, v85
.Ltmp58:
	.loc	1 38 66                         ; attention_fwd.py:38:66
	v_cndmask_b32_e64 v87, v141, 0xff800000, s0
	.loc	1 36 40                         ; attention_fwd.py:36:40
	v_cmp_le_i32_e64 s23, s100, v88
	.loc	1 38 45                         ; attention_fwd.py:38:45
	v_cmp_lt_i32_e64 s56, v163, v88
	.loc	1 38 66 is_stmt 0               ; attention_fwd.py:38:66
	s_or_b32 s0, s54, s21
	.loc	1 36 40 is_stmt 1               ; attention_fwd.py:36:40
	v_cmp_le_i32_e64 s24, s100, v89
	.loc	1 38 45                         ; attention_fwd.py:38:45
	v_cmp_lt_i32_e64 s57, v163, v89
	.loc	1 38 66 is_stmt 0               ; attention_fwd.py:38:66
	v_cndmask_b32_e64 v88, v142, 0xff800000, s0
	s_or_b32 s0, s55, s22
.Ltmp59:
	.loc	2 170 27 is_stmt 1              ; standard.py:170:27 @[ standard.py:191:40 @[ attention_fwd.py:39:42 ] ]
	v_max3_f32 v68, v68, v86, v87
.Ltmp60:
	.loc	1 38 66                         ; attention_fwd.py:38:66
	v_cndmask_b32_e64 v89, v143, 0xff800000, s0
	.loc	1 36 40                         ; attention_fwd.py:36:40
	v_cmp_le_i32_e64 s25, s100, v90
	.loc	1 38 45                         ; attention_fwd.py:38:45
	v_cmp_lt_i32_e64 s58, v163, v90
	.loc	1 38 66 is_stmt 0               ; attention_fwd.py:38:66
	s_or_b32 s0, s56, s23
	.loc	1 36 40 is_stmt 1               ; attention_fwd.py:36:40
	v_cmp_le_i32_e64 s26, s100, v91
	.loc	1 38 45                         ; attention_fwd.py:38:45
	v_cmp_lt_i32_e64 s59, v163, v91
	.loc	1 38 66 is_stmt 0               ; attention_fwd.py:38:66
	v_cndmask_b32_e64 v90, v128, 0xff800000, s0
	s_or_b32 s0, s57, s24
.Ltmp61:
	.loc	2 170 27 is_stmt 1              ; standard.py:170:27 @[ standard.py:191:40 @[ attention_fwd.py:39:42 ] ]
	v_max3_f32 v68, v68, v88, v89
.Ltmp62:
	.loc	1 38 66                         ; attention_fwd.py:38:66
	v_cndmask_b32_e64 v91, v129, 0xff800000, s0
	.loc	1 36 40                         ; attention_fwd.py:36:40
	v_cmp_le_i32_e64 s27, s100, v92
	.loc	1 38 45                         ; attention_fwd.py:38:45
	v_cmp_lt_i32_e64 s60, v163, v92
	.loc	1 38 66 is_stmt 0               ; attention_fwd.py:38:66
	s_or_b32 s0, s58, s25
	.loc	1 36 40 is_stmt 1               ; attention_fwd.py:36:40
	v_cmp_le_i32_e64 s28, s100, v93
	.loc	1 38 45                         ; attention_fwd.py:38:45
	v_cmp_lt_i32_e64 s61, v163, v93
	.loc	1 38 66 is_stmt 0               ; attention_fwd.py:38:66
	v_cndmask_b32_e64 v92, v130, 0xff800000, s0
	s_or_b32 s0, s59, s26
.Ltmp63:
	.loc	2 170 27 is_stmt 1              ; standard.py:170:27 @[ standard.py:191:40 @[ attention_fwd.py:39:42 ] ]
	v_max3_f32 v68, v68, v90, v91
.Ltmp64:
	.loc	1 38 66                         ; attention_fwd.py:38:66
	v_cndmask_b32_e64 v93, v131, 0xff800000, s0
	.loc	1 36 40                         ; attention_fwd.py:36:40
	v_cmp_le_i32_e64 s29, s100, v94
	.loc	1 38 45                         ; attention_fwd.py:38:45
	v_cmp_lt_i32_e64 s62, v163, v94
	.loc	1 38 66 is_stmt 0               ; attention_fwd.py:38:66
	s_or_b32 s0, s60, s27
	.loc	1 36 40 is_stmt 1               ; attention_fwd.py:36:40
	v_cmp_le_i32_e64 s30, s100, v95
	.loc	1 38 45                         ; attention_fwd.py:38:45
	v_cmp_lt_i32_e64 s63, v163, v95
	.loc	1 38 66 is_stmt 0               ; attention_fwd.py:38:66
	v_cndmask_b32_e64 v94, v132, 0xff800000, s0
	s_or_b32 s0, s61, s28
.Ltmp65:
	.loc	2 170 27 is_stmt 1              ; standard.py:170:27 @[ standard.py:191:40 @[ attention_fwd.py:39:42 ] ]
	v_max3_f32 v68, v68, v92, v93
.Ltmp66:
	.loc	1 38 66                         ; attention_fwd.py:38:66
	v_cndmask_b32_e64 v95, v133, 0xff800000, s0
	s_or_b32 s0, s62, s29
	s_mov_b32 s3, 0x76543210
	v_cndmask_b32_e64 v96, v134, 0xff800000, s0
	s_or_b32 s0, s63, s30
.Ltmp67:
	.loc	2 170 27                        ; standard.py:170:27 @[ standard.py:191:40 @[ attention_fwd.py:39:42 ] ]
	v_max3_f32 v68, v68, v94, v95
.Ltmp68:
	.loc	1 38 66                         ; attention_fwd.py:38:66
	v_cndmask_b32_e64 v97, v135, 0xff800000, s0
	s_delay_alu instid0(VALU_DEP_1) | instskip(NEXT) | instid1(VALU_DEP_1)
.Ltmp69:
	.loc	2 170 27                        ; standard.py:170:27 @[ standard.py:191:40 @[ attention_fwd.py:39:42 ] ]
	v_max3_f32 v68, v68, v96, v97
.Ltmp70:
	.loc	2 191 40                        ; standard.py:191:40 @[ attention_fwd.py:39:42 ]
	v_permlanex16_b32 v72, v68, s3, 0xfedcba98 op_sel:[1,0]
	s_delay_alu instid0(VALU_DEP_1) | instskip(NEXT) | instid1(VALU_DEP_1)
.Ltmp71:
	.loc	1 39 31                         ; attention_fwd.py:39:31
	v_max3_f32 v72, v170, v68, v72
	.loc	1 40 24                         ; attention_fwd.py:40:24
	v_sub_f32_e32 v65, v65, v72
	v_sub_f32_e32 v67, v67, v72
	;; [unrolled: 1-line block ×5, first 2 shown]
	s_delay_alu instid0(VALU_DEP_4) | instskip(NEXT) | instid1(VALU_DEP_1)
	v_dual_sub_f32 v66, v66, v72 :: v_dual_mul_f32 v99, 0x3fb8aa3b, v67
	.loc	1 40 19 is_stmt 0               ; attention_fwd.py:40:19
	v_mul_f32_e32 v98, 0x3fb8aa3b, v66
	.loc	1 40 24                         ; attention_fwd.py:40:24
	v_sub_f32_e32 v70, v71, v72
	v_sub_f32_e32 v71, v73, v72
	;; [unrolled: 1-line block ×14, first 2 shown]
	.loc	1 40 19                         ; attention_fwd.py:40:19
	v_mul_f32_e32 v85, 0x3fb8aa3b, v64
	v_cmp_gt_f32_e64 s1, 0xc2fc0000, v99
	s_delay_alu instid0(VALU_DEP_2) | instskip(SKIP_4) | instid1(VALU_DEP_4)
	v_cmp_gt_f32_e32 vcc_lo, 0xc2fc0000, v85
	v_cndmask_b32_e64 v85, 0, 0x42800000, vcc_lo
	v_cndmask_b32_e64 v100, 0, 0xffffffc0, vcc_lo
	v_cmp_gt_f32_e32 vcc_lo, 0xc2fc0000, v98
	v_cndmask_b32_e64 v98, 0, 0x42800000, s1
	v_dual_fmac_f32 v85, 0x3fb8aa3b, v64 :: v_dual_mul_f32 v64, 0x3fb8aa3b, v65
	s_delay_alu instid0(VALU_DEP_2) | instskip(NEXT) | instid1(VALU_DEP_2)
	v_dual_fmac_f32 v98, 0x3fb8aa3b, v67 :: v_dual_mul_f32 v67, 0x3fb8aa3b, v69
	v_exp_f32_e32 v85, v85
	s_delay_alu instid0(VALU_DEP_2) | instskip(NEXT) | instid1(VALU_DEP_2)
	v_cmp_gt_f32_e64 s0, 0xc2fc0000, v64
	v_exp_f32_e32 v98, v98
	s_delay_alu instid0(VALU_DEP_1) | instskip(SKIP_4) | instid1(VALU_DEP_2)
	v_cndmask_b32_e64 v64, 0, 0x42800000, s0
	s_waitcnt_depctr depctr_va_vdst(0)
	v_ldexp_f32 v85, v85, v100
	v_fmac_f32_e32 v64, 0x3fb8aa3b, v65
	v_cndmask_b32_e64 v65, 0, 0x42800000, vcc_lo
	v_exp_f32_e32 v64, v64
	s_delay_alu instid0(VALU_DEP_1) | instskip(SKIP_1) | instid1(VALU_DEP_2)
	v_fmac_f32_e32 v65, 0x3fb8aa3b, v66
	v_mul_f32_e32 v99, 0x3fb8aa3b, v68
	v_exp_f32_e32 v65, v65
	s_delay_alu instid0(VALU_DEP_1) | instskip(SKIP_2) | instid1(VALU_DEP_3)
	v_cmp_gt_f32_e64 s2, 0xc2fc0000, v99
	v_cndmask_b32_e64 v99, 0, 0xffffffc0, s0
	v_cmp_gt_f32_e64 s0, 0xc2fc0000, v67
	v_cndmask_b32_e64 v66, 0, 0x42800000, s2
	s_delay_alu instid0(TRANS32_DEP_2) | instid1(VALU_DEP_3)
	v_ldexp_f32 v64, v64, v99
	s_delay_alu instid0(VALU_DEP_3)
	v_cndmask_b32_e64 v67, 0, 0x42800000, s0
	v_cndmask_b32_e64 v99, 0, 0xffffffc0, s1
	;; [unrolled: 1-line block ×3, first 2 shown]
	v_fmac_f32_e32 v66, 0x3fb8aa3b, v68
	v_cndmask_b32_e64 v68, 0, 0xffffffc0, vcc_lo
	v_fmac_f32_e32 v67, 0x3fb8aa3b, v69
	v_mul_f32_e32 v69, 0x3fb8aa3b, v70
	s_delay_alu instid0(VALU_DEP_4) | instskip(NEXT) | instid1(VALU_DEP_3)
	v_exp_f32_e32 v66, v66
	v_ldexp_f32 v65, v65, v68
	v_ldexp_f32 v68, v98, v99
	v_cndmask_b32_e64 v98, 0, 0xffffffc0, s2
	v_cmp_gt_f32_e32 vcc_lo, 0xc2fc0000, v69
	v_mul_f32_e32 v99, 0x3fb8aa3b, v71
	v_exp_f32_e32 v67, v67
	v_cndmask_b32_e64 v69, 0, 0x42800000, vcc_lo
	s_delay_alu instid0(TRANS32_DEP_2) | instskip(SKIP_4) | instid1(VALU_DEP_4)
	v_ldexp_f32 v66, v66, v98
	v_mul_f32_e32 v98, 0x3fb8aa3b, v73
	v_cmp_gt_f32_e64 s0, 0xc2fc0000, v99
	v_mul_f32_e32 v99, 0x3fb8aa3b, v74
	v_fmac_f32_e32 v69, 0x3fb8aa3b, v70
	v_cmp_gt_f32_e64 s1, 0xc2fc0000, v98
	s_delay_alu instid0(VALU_DEP_4) | instskip(NEXT) | instid1(VALU_DEP_4)
	v_cndmask_b32_e64 v70, 0, 0x42800000, s0
	v_cmp_gt_f32_e64 s2, 0xc2fc0000, v99
	s_delay_alu instid0(VALU_DEP_4)
	v_exp_f32_e32 v69, v69
	v_cndmask_b32_e64 v99, 0, 0xffffffc0, vcc_lo
	v_cndmask_b32_e64 v98, 0, 0x42800000, s1
	v_fmac_f32_e32 v70, 0x3fb8aa3b, v71
	v_cndmask_b32_e64 v71, 0, 0x42800000, s2
	.loc	1 40 24                         ; attention_fwd.py:40:24
	v_sub_f32_e32 v88, v88, v72
	.loc	1 40 19                         ; attention_fwd.py:40:19
	v_ldexp_f32 v67, v67, v100
	v_dual_fmac_f32 v98, 0x3fb8aa3b, v73 :: v_dual_mul_f32 v73, 0x3fb8aa3b, v75
	v_exp_f32_e32 v70, v70
	v_fmac_f32_e32 v71, 0x3fb8aa3b, v74
	v_ldexp_f32 v69, v69, v99
	s_delay_alu instid0(VALU_DEP_3)
	v_exp_f32_e32 v98, v98
	v_cmp_gt_f32_e32 vcc_lo, 0xc2fc0000, v73
	v_cndmask_b32_e64 v74, 0, 0xffffffc0, s0
	v_cndmask_b32_e64 v99, 0, 0xffffffc0, s1
	v_exp_f32_e32 v71, v71
	.loc	1 40 24                         ; attention_fwd.py:40:24
	v_sub_f32_e32 v90, v90, v72
	.loc	1 40 19                         ; attention_fwd.py:40:19
	v_cndmask_b32_e64 v73, 0, 0x42800000, vcc_lo
	v_ldexp_f32 v70, v70, v74
	.loc	1 40 24                         ; attention_fwd.py:40:24
	v_sub_f32_e32 v86, v86, v72
	.loc	1 40 19                         ; attention_fwd.py:40:19
	v_cndmask_b32_e64 v100, 0, 0xffffffc0, vcc_lo
	v_ldexp_f32 v74, v98, v99
	v_cndmask_b32_e64 v98, 0, 0xffffffc0, s2
	v_fmac_f32_e32 v73, 0x3fb8aa3b, v75
	v_mul_f32_e32 v75, 0x3fb8aa3b, v76
	v_dual_mul_f32 v99, 0x3fb8aa3b, v77 :: v_dual_sub_f32 v94, v94, v72
	s_delay_alu instid0(VALU_DEP_4) | instskip(SKIP_1) | instid1(VALU_DEP_4)
	v_ldexp_f32 v71, v71, v98
	v_mul_f32_e32 v98, 0x3fb8aa3b, v78
	v_cmp_gt_f32_e64 s0, 0xc2fc0000, v75
	s_delay_alu instid0(VALU_DEP_4)
	v_cmp_gt_f32_e32 vcc_lo, 0xc2fc0000, v99
	v_mul_f32_e32 v99, 0x3fb8aa3b, v79
	.loc	1 40 24                         ; attention_fwd.py:40:24
	v_sub_f32_e32 v87, v87, v72
	.loc	1 40 19                         ; attention_fwd.py:40:19
	v_cmp_gt_f32_e64 s1, 0xc2fc0000, v98
	v_cndmask_b32_e64 v75, 0, 0x42800000, s0
	v_exp_f32_e32 v73, v73
	v_cmp_gt_f32_e64 s2, 0xc2fc0000, v99
	v_cndmask_b32_e64 v99, 0, 0xffffffc0, s0
	v_cndmask_b32_e64 v98, 0, 0x42800000, s1
	v_fmac_f32_e32 v75, 0x3fb8aa3b, v76
	v_cndmask_b32_e64 v76, 0, 0x42800000, vcc_lo
	s_delay_alu instid0(VALU_DEP_3) | instskip(SKIP_1) | instid1(VALU_DEP_4)
	v_fmac_f32_e32 v98, 0x3fb8aa3b, v78
	v_mul_f32_e32 v78, 0x3fb8aa3b, v80
	v_exp_f32_e32 v75, v75
	s_delay_alu instid0(VALU_DEP_3)
	v_fmac_f32_e32 v76, 0x3fb8aa3b, v77
	v_cndmask_b32_e64 v77, 0, 0x42800000, s2
	.loc	1 40 24                         ; attention_fwd.py:40:24
	v_sub_f32_e32 v92, v92, v72
	.loc	1 40 19                         ; attention_fwd.py:40:19
	v_cmp_gt_f32_e64 s0, 0xc2fc0000, v78
	v_exp_f32_e32 v98, v98
	v_exp_f32_e32 v76, v76
	v_fmac_f32_e32 v77, 0x3fb8aa3b, v79
	v_cndmask_b32_e64 v79, 0, 0xffffffc0, vcc_lo
	v_cndmask_b32_e64 v78, 0, 0x42800000, s0
	v_ldexp_f32 v75, v75, v99
	v_cndmask_b32_e64 v99, 0, 0xffffffc0, s1
	v_exp_f32_e32 v77, v77
	v_ldexp_f32 v73, v73, v100
	v_fmac_f32_e32 v78, 0x3fb8aa3b, v80
	v_mul_f32_e32 v80, 0x3fb8aa3b, v81
	v_ldexp_f32 v76, v76, v79
	v_ldexp_f32 v79, v98, v99
	v_cndmask_b32_e64 v98, 0, 0xffffffc0, s2
	v_mul_f32_e32 v99, 0x3fb8aa3b, v82
	v_cmp_gt_f32_e32 vcc_lo, 0xc2fc0000, v80
	v_cndmask_b32_e64 v100, 0, 0xffffffc0, s0
	v_exp_f32_e32 v78, v78
	v_ldexp_f32 v77, v77, v98
.Ltmp72:
	.loc	2 263 15 is_stmt 1              ; standard.py:263:15 @[ standard.py:293:36 @[ attention_fwd.py:42:38 ] ]
	v_add_f32_e32 v98, v85, v64
.Ltmp73:
	.loc	1 40 19                         ; attention_fwd.py:40:19
	v_cndmask_b32_e64 v80, 0, 0x42800000, vcc_lo
	v_cmp_gt_f32_e64 s0, 0xc2fc0000, v99
	.loc	1 40 24 is_stmt 0               ; attention_fwd.py:40:24
	v_sub_f32_e32 v89, v89, v72
	s_delay_alu instid0(VALU_DEP_4) | instskip(NEXT) | instid1(VALU_DEP_4)
	v_dual_sub_f32 v91, v91, v72 :: v_dual_add_f32 v98, v65, v98
	.loc	1 40 19                         ; attention_fwd.py:40:19
	v_fmac_f32_e32 v80, 0x3fb8aa3b, v81
	s_delay_alu instid0(VALU_DEP_4) | instskip(SKIP_2) | instid1(VALU_DEP_4)
	v_cndmask_b32_e64 v81, 0, 0x42800000, s0
	.loc	1 40 24                         ; attention_fwd.py:40:24
	v_sub_f32_e32 v93, v93, v72
	v_dual_sub_f32 v96, v96, v72 :: v_dual_mul_f32 v99, 0x3fb8aa3b, v83
	.loc	1 40 19                         ; attention_fwd.py:40:19
	v_exp_f32_e32 v80, v80
	s_delay_alu instid0(VALU_DEP_3)
	v_fmac_f32_e32 v81, 0x3fb8aa3b, v82
.Ltmp74:
	.loc	2 263 15 is_stmt 1              ; standard.py:263:15 @[ standard.py:293:36 @[ attention_fwd.py:42:38 ] ]
	v_add_f32_e32 v82, v68, v98
.Ltmp75:
	.loc	1 40 19                         ; attention_fwd.py:40:19
	v_ldexp_f32 v78, v78, v100
	v_cmp_gt_f32_e64 s1, 0xc2fc0000, v99
	v_mul_f32_e32 v99, 0x3fb8aa3b, v84
	v_cndmask_b32_e64 v100, 0, 0xffffffc0, vcc_lo
.Ltmp76:
	.loc	2 263 15                        ; standard.py:263:15 @[ standard.py:293:36 @[ attention_fwd.py:42:38 ] ]
	v_dual_add_f32 v82, v66, v82 :: v_dual_sub_f32 v97, v97, v72
	s_delay_alu instid0(VALU_DEP_4) | instskip(SKIP_1) | instid1(VALU_DEP_4)
.Ltmp77:
	.loc	1 40 19                         ; attention_fwd.py:40:19
	v_cndmask_b32_e64 v98, 0, 0x42800000, s1
	.loc	1 40 24 is_stmt 0               ; attention_fwd.py:40:24
	v_sub_f32_e32 v95, v95, v72
	.loc	1 40 19                         ; attention_fwd.py:40:19
	v_ldexp_f32 v80, v80, v100
	s_delay_alu instid0(VALU_DEP_4)
.Ltmp78:
	.loc	2 263 15 is_stmt 1              ; standard.py:263:15 @[ standard.py:293:36 @[ attention_fwd.py:42:38 ] ]
	v_add_f32_e32 v82, v67, v82
.Ltmp79:
	.loc	1 40 19                         ; attention_fwd.py:40:19
	v_mul_f32_e32 v100, 0x3fb8aa3b, v87
	v_cmp_gt_f32_e32 vcc_lo, 0xc2fc0000, v99
	v_exp_f32_e32 v81, v81
	v_fmac_f32_e32 v98, 0x3fb8aa3b, v83
.Ltmp80:
	.loc	2 263 15                        ; standard.py:263:15 @[ standard.py:293:36 @[ attention_fwd.py:42:38 ] ]
	v_add_f32_e32 v82, v69, v82
.Ltmp81:
	.loc	1 40 19                         ; attention_fwd.py:40:19
	v_cndmask_b32_e64 v99, 0, 0xffffffc0, s0
	v_cndmask_b32_e64 v83, 0, 0x42800000, vcc_lo
	.loc	1 46 27                         ; attention_fwd.py:46:27
	v_cvt_f16_f32_e32 v64, v64
	.loc	1 40 19                         ; attention_fwd.py:40:19
	v_exp_f32_e32 v98, v98
.Ltmp82:
	.loc	2 263 15                        ; standard.py:263:15 @[ standard.py:293:36 @[ attention_fwd.py:42:38 ] ]
	v_add_f32_e32 v82, v70, v82
.Ltmp83:
	.loc	1 46 27                         ; attention_fwd.py:46:27
	v_cvt_f16_f32_e32 v65, v65
	.loc	1 40 19                         ; attention_fwd.py:40:19
	v_dual_fmac_f32 v83, 0x3fb8aa3b, v84 :: v_dual_mul_f32 v84, 0x3fb8aa3b, v86
	v_ldexp_f32 v81, v81, v99
	v_cndmask_b32_e64 v99, 0, 0xffffffc0, s1
.Ltmp84:
	.loc	2 263 15                        ; standard.py:263:15 @[ standard.py:293:36 @[ attention_fwd.py:42:38 ] ]
	v_add_f32_e32 v82, v74, v82
	s_delay_alu instid0(VALU_DEP_4)
.Ltmp85:
	.loc	1 40 19                         ; attention_fwd.py:40:19
	v_exp_f32_e32 v83, v83
	v_cmp_gt_f32_e64 s0, 0xc2fc0000, v84
	.loc	1 46 27                         ; attention_fwd.py:46:27
	v_cvt_f16_f32_e32 v68, v68
	.loc	1 40 19                         ; attention_fwd.py:40:19
	v_ldexp_f32 v98, v98, v99
	v_cndmask_b32_e64 v99, 0, 0xffffffc0, vcc_lo
	v_cmp_gt_f32_e32 vcc_lo, 0xc2fc0000, v100
	v_cndmask_b32_e64 v84, 0, 0x42800000, s0
	v_mul_f32_e32 v100, 0x3fb8aa3b, v88
.Ltmp86:
	.loc	2 263 15                        ; standard.py:263:15 @[ standard.py:293:36 @[ attention_fwd.py:42:38 ] ]
	v_add_f32_e32 v82, v71, v82
.Ltmp87:
	.loc	1 46 27                         ; attention_fwd.py:46:27
	v_cvt_f16_f32_e32 v66, v66
	.loc	1 40 19                         ; attention_fwd.py:40:19
	v_ldexp_f32 v83, v83, v99
	v_fmac_f32_e32 v84, 0x3fb8aa3b, v86
	v_cndmask_b32_e64 v86, 0, 0x42800000, vcc_lo
	v_cmp_gt_f32_e64 s1, 0xc2fc0000, v100
	v_mul_f32_e32 v99, 0x3fb8aa3b, v89
	v_cndmask_b32_e64 v100, 0, 0xffffffc0, s0
	.loc	1 46 27                         ; attention_fwd.py:46:27
	v_cvt_f16_f32_e32 v67, v67
	.loc	1 40 19                         ; attention_fwd.py:40:19
	v_fmac_f32_e32 v86, 0x3fb8aa3b, v87
	v_cndmask_b32_e64 v87, 0, 0x42800000, s1
	v_cmp_gt_f32_e64 s0, 0xc2fc0000, v99
	v_cndmask_b32_e64 v99, 0, 0xffffffc0, vcc_lo
	.loc	1 46 27                         ; attention_fwd.py:46:27
	v_cvt_f16_f32_e32 v69, v69
	.loc	1 40 19                         ; attention_fwd.py:40:19
	v_exp_f32_e32 v86, v86
	v_fmac_f32_e32 v87, 0x3fb8aa3b, v88
	v_exp_f32_e32 v84, v84
	v_cndmask_b32_e64 v88, 0, 0x42800000, s0
	.loc	1 46 27                         ; attention_fwd.py:46:27
	v_cvt_f16_f32_e32 v70, v70
	v_cvt_f16_f32_e32 v74, v74
	.loc	1 40 19                         ; attention_fwd.py:40:19
	v_exp_f32_e32 v87, v87
	.loc	1 46 27                         ; attention_fwd.py:46:27
	v_cvt_f16_f32_e32 v71, v71
	.loc	1 40 19                         ; attention_fwd.py:40:19
	v_dual_fmac_f32 v88, 0x3fb8aa3b, v89 :: v_dual_mul_f32 v89, 0x3fb8aa3b, v90
	s_delay_alu instid0(TRANS32_DEP_3) | instskip(SKIP_1) | instid1(TRANS32_DEP_2)
	v_ldexp_f32 v86, v86, v99
	v_cndmask_b32_e64 v99, 0, 0xffffffc0, s1
	v_ldexp_f32 v84, v84, v100
	s_delay_alu instid0(VALU_DEP_4) | instskip(SKIP_2) | instid1(TRANS32_DEP_2)
	v_exp_f32_e32 v88, v88
	v_cmp_gt_f32_e32 vcc_lo, 0xc2fc0000, v89
	v_mul_f32_e32 v100, 0x3fb8aa3b, v91
	v_ldexp_f32 v87, v87, v99
	v_cndmask_b32_e64 v99, 0, 0xffffffc0, s0
	.loc	1 46 27                         ; attention_fwd.py:46:27
	v_pack_b32_f16 v65, v65, v68
	.loc	1 40 19                         ; attention_fwd.py:40:19
	v_cndmask_b32_e64 v89, 0, 0x42800000, vcc_lo
	v_cmp_gt_f32_e64 s0, 0xc2fc0000, v100
	v_mul_f32_e32 v100, 0x3fb8aa3b, v92
	.loc	1 46 27                         ; attention_fwd.py:46:27
	v_pack_b32_f16 v66, v66, v67
	.loc	1 40 19                         ; attention_fwd.py:40:19
	v_ldexp_f32 v88, v88, v99
	v_fmac_f32_e32 v89, 0x3fb8aa3b, v90
	v_cndmask_b32_e64 v90, 0, 0x42800000, s0
	v_cmp_gt_f32_e64 s1, 0xc2fc0000, v100
	v_mul_f32_e32 v99, 0x3fb8aa3b, v93
	v_cndmask_b32_e64 v100, 0, 0xffffffc0, vcc_lo
	v_exp_f32_e32 v89, v89
	v_fmac_f32_e32 v90, 0x3fb8aa3b, v91
	v_cndmask_b32_e64 v91, 0, 0x42800000, s1
	v_cmp_gt_f32_e32 vcc_lo, 0xc2fc0000, v99
	v_cndmask_b32_e64 v99, 0, 0xffffffc0, s0
.Ltmp88:
	.loc	2 263 15                        ; standard.py:263:15 @[ standard.py:293:36 @[ attention_fwd.py:42:38 ] ]
	v_add_f32_e32 v82, v73, v82
.Ltmp89:
	.loc	1 40 19                         ; attention_fwd.py:40:19
	v_exp_f32_e32 v90, v90
	v_fmac_f32_e32 v91, 0x3fb8aa3b, v92
	v_cndmask_b32_e64 v92, 0, 0x42800000, vcc_lo
	.loc	1 46 27                         ; attention_fwd.py:46:27
	v_cvt_f16_f32_e32 v73, v73
	.loc	1 40 19                         ; attention_fwd.py:40:19
	v_ldexp_f32 v89, v89, v100
	v_mul_f32_e32 v100, 0x3fb8aa3b, v95
	v_exp_f32_e32 v91, v91
	v_dual_fmac_f32 v92, 0x3fb8aa3b, v93 :: v_dual_mul_f32 v93, 0x3fb8aa3b, v94
	.loc	1 46 27                         ; attention_fwd.py:46:27
	v_pack_b32_f16 v67, v69, v70
	s_delay_alu instid0(TRANS32_DEP_2) | instskip(SKIP_1) | instid1(VALU_DEP_4)
	.loc	1 40 19                         ; attention_fwd.py:40:19
	v_ldexp_f32 v90, v90, v99
	v_cndmask_b32_e64 v99, 0, 0xffffffc0, s1
	v_exp_f32_e32 v92, v92
	v_cmp_gt_f32_e64 s0, 0xc2fc0000, v93
	.loc	1 46 27                         ; attention_fwd.py:46:27
	v_pack_b32_f16 v149, v74, v71
	v_permlanex16_b32 v74, v65, s3, 0xfedcba98 op_sel:[1,0]
	s_delay_alu instid0(TRANS32_DEP_2)
	.loc	1 40 19                         ; attention_fwd.py:40:19
	v_ldexp_f32 v91, v91, v99
	v_cndmask_b32_e64 v99, 0, 0xffffffc0, vcc_lo
	v_cndmask_b32_e64 v93, 0, 0x42800000, s0
	v_cmp_gt_f32_e32 vcc_lo, 0xc2fc0000, v100
	v_mul_f32_e32 v100, 0x3fb8aa3b, v96
	.loc	1 46 27                         ; attention_fwd.py:46:27
	v_permlanex16_b32 v68, v66, s3, 0xfedcba98 op_sel:[1,0]
	.loc	1 40 19                         ; attention_fwd.py:40:19
	v_ldexp_f32 v92, v92, v99
	v_fmac_f32_e32 v93, 0x3fb8aa3b, v94
	v_cndmask_b32_e64 v94, 0, 0x42800000, vcc_lo
	v_cmp_gt_f32_e64 s1, 0xc2fc0000, v100
	v_mul_f32_e32 v99, 0x3fb8aa3b, v97
	v_cndmask_b32_e64 v100, 0, 0xffffffc0, s0
	v_exp_f32_e32 v93, v93
	v_fmac_f32_e32 v94, 0x3fb8aa3b, v95
	v_cndmask_b32_e64 v95, 0, 0x42800000, s1
.Ltmp90:
	.loc	2 263 15                        ; standard.py:263:15 @[ standard.py:293:36 @[ attention_fwd.py:42:38 ] ]
	v_add_f32_e32 v82, v75, v82
.Ltmp91:
	.loc	1 40 19                         ; attention_fwd.py:40:19
	v_cmp_gt_f32_e64 s0, 0xc2fc0000, v99
	v_cndmask_b32_e64 v99, 0, 0xffffffc0, vcc_lo
	v_exp_f32_e32 v94, v94
	s_delay_alu instid0(VALU_DEP_3) | instskip(NEXT) | instid1(VALU_DEP_3)
	v_dual_fmac_f32 v95, 0x3fb8aa3b, v96 :: v_dual_add_f32 v82, v76, v82
	v_cndmask_b32_e64 v96, 0, 0x42800000, s0
	s_delay_alu instid0(TRANS32_DEP_2) | instskip(SKIP_1) | instid1(VALU_DEP_4)
	v_ldexp_f32 v93, v93, v100
	.loc	1 46 27                         ; attention_fwd.py:46:27
	v_cvt_f16_f32_e32 v75, v75
	.loc	1 40 19                         ; attention_fwd.py:40:19
	v_exp_f32_e32 v95, v95
.Ltmp92:
	.loc	2 263 15                        ; standard.py:263:15 @[ standard.py:293:36 @[ attention_fwd.py:42:38 ] ]
	v_add_f32_e32 v82, v79, v82
.Ltmp93:
	.loc	1 40 19                         ; attention_fwd.py:40:19
	v_fmac_f32_e32 v96, 0x3fb8aa3b, v97
	v_cndmask_b32_e64 v97, 0, 0xffffffc0, s1
	s_delay_alu instid0(TRANS32_DEP_2)
	v_ldexp_f32 v94, v94, v99
	.loc	1 46 27                         ; attention_fwd.py:46:27
	v_cvt_f16_f32_e32 v76, v76
.Ltmp94:
	.loc	2 263 15                        ; standard.py:263:15 @[ standard.py:293:36 @[ attention_fwd.py:42:38 ] ]
	v_add_f32_e32 v82, v77, v82
.Ltmp95:
	.loc	1 40 19                         ; attention_fwd.py:40:19
	v_exp_f32_e32 v96, v96
	.loc	1 46 27                         ; attention_fwd.py:46:27
	v_cvt_f16_f32_e32 v79, v79
	v_cvt_f16_f32_e32 v77, v77
	.loc	1 40 19                         ; attention_fwd.py:40:19
	v_ldexp_f32 v95, v95, v97
.Ltmp96:
	.loc	2 263 15                        ; standard.py:263:15 @[ standard.py:293:36 @[ attention_fwd.py:42:38 ] ]
	v_add_f32_e32 v82, v78, v82
.Ltmp97:
	.loc	1 40 19                         ; attention_fwd.py:40:19
	v_cndmask_b32_e64 v97, 0, 0xffffffc0, s0
	.loc	1 46 27                         ; attention_fwd.py:46:27
	v_cvt_f16_f32_e32 v78, v78
	v_pack_b32_f16 v150, v73, v75
	v_pack_b32_f16 v151, v76, v79
.Ltmp98:
	.loc	2 263 15                        ; standard.py:263:15 @[ standard.py:293:36 @[ attention_fwd.py:42:38 ] ]
	v_add_f32_e32 v82, v80, v82
.Ltmp99:
	.loc	1 40 19                         ; attention_fwd.py:40:19
	v_ldexp_f32 v96, v96, v97
	.loc	1 46 27                         ; attention_fwd.py:46:27
	v_cvt_f16_f32_e32 v80, v80
	v_pack_b32_f16 v152, v77, v78
	v_permlanex16_b32 v69, v67, s3, 0xfedcba98 op_sel:[1,0]
.Ltmp100:
	.loc	2 263 15                        ; standard.py:263:15 @[ standard.py:293:36 @[ attention_fwd.py:42:38 ] ]
	v_add_f32_e32 v82, v81, v82
.Ltmp101:
	.loc	1 46 27                         ; attention_fwd.py:46:27
	v_cvt_f16_f32_e32 v81, v81
	v_permlanex16_b32 v153, v149, s3, 0xfedcba98 op_sel:[1,0]
	v_permlanex16_b32 v154, v150, s3, 0xfedcba98 op_sel:[1,0]
	;; [unrolled: 1-line block ×3, first 2 shown]
.Ltmp102:
	.loc	2 263 15                        ; standard.py:263:15 @[ standard.py:293:36 @[ attention_fwd.py:42:38 ] ]
	v_add_f32_e32 v82, v98, v82
.Ltmp103:
	.loc	1 46 27                         ; attention_fwd.py:46:27
	v_pack_b32_f16 v141, v80, v81
	v_permlanex16_b32 v156, v152, s3, 0xfedcba98 op_sel:[1,0]
	.loc	1 46 37 is_stmt 0               ; attention_fwd.py:46:37
	s_and_not1_b32 vcc_lo, exec_lo, s66
	s_delay_alu instid0(VALU_DEP_3) | instskip(SKIP_2) | instid1(VALU_DEP_3)
.Ltmp104:
	.loc	2 263 15 is_stmt 1              ; standard.py:263:15 @[ standard.py:293:36 @[ attention_fwd.py:42:38 ] ]
	v_add_f32_e32 v82, v83, v82
.Ltmp105:
	.loc	1 46 27                         ; attention_fwd.py:46:27
	v_cvt_f16_f32_e32 v83, v83
	v_permlanex16_b32 v145, v141, s3, 0xfedcba98 op_sel:[1,0]
.Ltmp106:
	.loc	2 263 15                        ; standard.py:263:15 @[ standard.py:293:36 @[ attention_fwd.py:42:38 ] ]
	v_add_f32_e32 v82, v84, v82
.Ltmp107:
	.loc	1 46 27                         ; attention_fwd.py:46:27
	v_cvt_f16_f32_e32 v84, v84
	s_delay_alu instid0(VALU_DEP_2) | instskip(SKIP_1) | instid1(VALU_DEP_2)
.Ltmp108:
	.loc	2 263 15                        ; standard.py:263:15 @[ standard.py:293:36 @[ attention_fwd.py:42:38 ] ]
	v_add_f32_e32 v82, v86, v82
.Ltmp109:
	.loc	1 46 27                         ; attention_fwd.py:46:27
	v_cvt_f16_f32_e32 v86, v86
.Ltmp110:
	.loc	2 263 15                        ; standard.py:263:15 @[ standard.py:293:36 @[ attention_fwd.py:42:38 ] ]
	v_add_f32_e32 v82, v87, v82
.Ltmp111:
	.loc	1 46 27                         ; attention_fwd.py:46:27
	v_cvt_f16_f32_e32 v87, v87
	s_delay_alu instid0(VALU_DEP_3) | instskip(NEXT) | instid1(VALU_DEP_3)
	v_pack_b32_f16 v143, v84, v86
.Ltmp112:
	.loc	2 263 15                        ; standard.py:263:15 @[ standard.py:293:36 @[ attention_fwd.py:42:38 ] ]
	v_add_f32_e32 v82, v88, v82
.Ltmp113:
	.loc	1 46 27                         ; attention_fwd.py:46:27
	v_cvt_f16_f32_e32 v88, v88
	s_delay_alu instid0(VALU_DEP_3) | instskip(NEXT) | instid1(VALU_DEP_3)
	v_permlanex16_b32 v147, v143, s3, 0xfedcba98 op_sel:[1,0]
.Ltmp114:
	.loc	2 263 15                        ; standard.py:263:15 @[ standard.py:293:36 @[ attention_fwd.py:42:38 ] ]
	v_add_f32_e32 v82, v89, v82
.Ltmp115:
	.loc	1 46 27                         ; attention_fwd.py:46:27
	v_cvt_f16_f32_e32 v89, v89
	s_delay_alu instid0(VALU_DEP_4) | instskip(NEXT) | instid1(VALU_DEP_3)
	v_pack_b32_f16 v144, v87, v88
.Ltmp116:
	.loc	2 263 15                        ; standard.py:263:15 @[ standard.py:293:36 @[ attention_fwd.py:42:38 ] ]
	v_add_f32_e32 v82, v90, v82
.Ltmp117:
	.loc	1 46 27                         ; attention_fwd.py:46:27
	v_cvt_f16_f32_e32 v90, v90
	s_delay_alu instid0(VALU_DEP_3) | instskip(NEXT) | instid1(VALU_DEP_3)
	v_permlanex16_b32 v148, v144, s3, 0xfedcba98 op_sel:[1,0]
.Ltmp118:
	.loc	2 263 15                        ; standard.py:263:15 @[ standard.py:293:36 @[ attention_fwd.py:42:38 ] ]
	v_add_f32_e32 v82, v91, v82
.Ltmp119:
	.loc	1 46 27                         ; attention_fwd.py:46:27
	v_cvt_f16_f32_e32 v91, v91
	s_delay_alu instid0(VALU_DEP_4) | instskip(NEXT) | instid1(VALU_DEP_3)
	v_pack_b32_f16 v131, v89, v90
.Ltmp120:
	.loc	2 263 15                        ; standard.py:263:15 @[ standard.py:293:36 @[ attention_fwd.py:42:38 ] ]
	v_add_f32_e32 v82, v92, v82
.Ltmp121:
	.loc	1 46 27                         ; attention_fwd.py:46:27
	v_cvt_f16_f32_e32 v92, v92
	s_delay_alu instid0(VALU_DEP_3) | instskip(NEXT) | instid1(VALU_DEP_3)
	v_permlanex16_b32 v135, v131, s3, 0xfedcba98 op_sel:[1,0]
.Ltmp122:
	.loc	2 263 15                        ; standard.py:263:15 @[ standard.py:293:36 @[ attention_fwd.py:42:38 ] ]
	v_add_f32_e32 v82, v93, v82
.Ltmp123:
	.loc	1 46 27                         ; attention_fwd.py:46:27
	v_cvt_f16_f32_e32 v93, v93
	s_delay_alu instid0(VALU_DEP_4) | instskip(NEXT) | instid1(VALU_DEP_3)
	v_pack_b32_f16 v132, v91, v92
.Ltmp124:
	.loc	2 263 15                        ; standard.py:263:15 @[ standard.py:293:36 @[ attention_fwd.py:42:38 ] ]
	v_add_f32_e32 v82, v94, v82
.Ltmp125:
	.loc	1 46 27                         ; attention_fwd.py:46:27
	v_cvt_f16_f32_e32 v94, v94
	s_delay_alu instid0(VALU_DEP_3) | instskip(NEXT) | instid1(VALU_DEP_3)
	v_permlanex16_b32 v136, v132, s3, 0xfedcba98 op_sel:[1,0]
.Ltmp126:
	.loc	2 263 15                        ; standard.py:263:15 @[ standard.py:293:36 @[ attention_fwd.py:42:38 ] ]
	v_add_f32_e32 v82, v95, v82
.Ltmp127:
	.loc	1 46 27                         ; attention_fwd.py:46:27
	v_cvt_f16_f32_e32 v95, v95
	s_delay_alu instid0(VALU_DEP_4) | instskip(NEXT) | instid1(VALU_DEP_3)
	v_pack_b32_f16 v133, v93, v94
.Ltmp128:
	.loc	2 263 15                        ; standard.py:263:15 @[ standard.py:293:36 @[ attention_fwd.py:42:38 ] ]
	v_add_f32_e32 v128, v96, v82
.Ltmp129:
	.loc	1 46 27                         ; attention_fwd.py:46:27
	v_cvt_f16_f32_e32 v82, v85
	v_cvt_f16_f32_e32 v85, v98
	;; [unrolled: 1-line block ×3, first 2 shown]
	v_permlanex16_b32 v137, v133, s3, 0xfedcba98 op_sel:[1,0]
.Ltmp130:
	.loc	2 293 36                        ; standard.py:293:36 @[ attention_fwd.py:42:38 ]
	v_permlanex16_b32 v129, v128, s3, 0xfedcba98 op_sel:[1,0]
.Ltmp131:
	.loc	1 46 27                         ; attention_fwd.py:46:27
	v_pack_b32_f16 v64, v82, v64
	v_pack_b32_f16 v142, v85, v83
	;; [unrolled: 1-line block ×3, first 2 shown]
	s_delay_alu instid0(VALU_DEP_3) | instskip(NEXT) | instid1(VALU_DEP_3)
	v_permlanex16_b32 v73, v64, s3, 0xfedcba98 op_sel:[1,0]
	v_permlanex16_b32 v146, v142, s3, 0xfedcba98 op_sel:[1,0]
	s_delay_alu instid0(VALU_DEP_3)
	v_permlanex16_b32 v138, v134, s3, 0xfedcba98 op_sel:[1,0]
	s_cbranch_vccz .LBB0_394
; %bb.392:
	.loc	1 50 23                         ; attention_fwd.py:50:23
	s_mov_b32 s0, exec_lo
	.loc	1 21 47                         ; attention_fwd.py:21:47
	v_cmpx_gt_i32_e64 s100, v163
	s_cbranch_execnz .LBB0_395
.LBB0_393:                              ; %.critedge124
	.loc	1 50 4                          ; attention_fwd.py:50:4
	s_endpgm
.LBB0_394:
	.loc	1 46 27                         ; attention_fwd.py:46:27
	v_mov_b32_e32 v70, 0x7632
	v_cmp_eq_u32_e32 vcc_lo, 0, v187
	v_dual_mov_b32 v71, 0x5410 :: v_dual_sub_f32 v72, v170, v72
	s_delay_alu instid0(VALU_DEP_3) | instskip(NEXT) | instid1(VALU_DEP_2)
	v_cndmask_b32_e32 v70, 0x3276, v70, vcc_lo
	v_cndmask_b32_e32 v71, 0x1054, v71, vcc_lo
	s_delay_alu instid0(VALU_DEP_2) | instskip(NEXT) | instid1(VALU_DEP_2)
	v_lshl_or_b32 v70, v70, 8, v70
	v_lshl_or_b32 v71, v71, 8, v71
	s_delay_alu instid0(VALU_DEP_2) | instskip(NEXT) | instid1(VALU_DEP_2)
	v_and_b32_e32 v70, 0x760076, v70
	v_and_b32_e32 v71, 0x540054, v71
	s_delay_alu instid0(VALU_DEP_2) | instskip(NEXT) | instid1(VALU_DEP_2)
	v_lshl_or_b32 v70, v70, 4, v70
	v_lshl_or_b32 v71, v71, 4, v71
	s_delay_alu instid0(VALU_DEP_2) | instskip(NEXT) | instid1(VALU_DEP_2)
	v_and_b32_e32 v139, 0x7060706, v70
	v_and_b32_e32 v140, 0x5040504, v71
	s_delay_alu instid0(VALU_DEP_2) | instskip(NEXT) | instid1(VALU_DEP_2)
	v_perm_b32 v71, v69, v67, v139
	v_perm_b32 v70, v69, v67, v140
	;; [unrolled: 1-line block ×8, first 2 shown]
	.loc	1 41 23                         ; attention_fwd.py:41:23
	v_mul_f32_e32 v73, 0x3fb8aa3b, v72
	.loc	1 45 20                         ; attention_fwd.py:45:20
	ds_load_u16 v79, v164 offset:3584
	ds_load_u16 v87, v164 offset:3616
	ds_load_u16 v95, v164 offset:3648
	ds_load_u16 v103, v164 offset:3680
	ds_load_u16 v111, v164 offset:3712
	ds_load_u16 v184, v164 offset:3744
	ds_load_u16 v192, v164 offset:3776
	ds_load_u16 v200, v164 offset:3808
	ds_load_u16 v78, v164 offset:3072
	ds_load_u16 v86, v164 offset:3104
	ds_load_u16 v94, v164 offset:3136
	ds_load_u16 v102, v164 offset:3168
	ds_load_u16 v110, v164 offset:3200
	ds_load_u16 v183, v164 offset:3232
	ds_load_u16 v191, v164 offset:3264
	ds_load_u16 v199, v164 offset:3296
	ds_load_u16 v77, v164 offset:2560
	ds_load_u16 v85, v164 offset:2592
	ds_load_u16 v93, v164 offset:2624
	ds_load_u16 v101, v164 offset:2656
	ds_load_u16 v109, v164 offset:2688
	ds_load_u16 v182, v164 offset:2720
	ds_load_u16 v190, v164 offset:2752
	ds_load_u16 v198, v164 offset:2784
	ds_load_u16 v76, v164 offset:2048
	ds_load_u16 v84, v164 offset:2080
	ds_load_u16 v92, v164 offset:2112
	ds_load_u16 v100, v164 offset:2144
	ds_load_u16 v108, v164 offset:2176
	ds_load_u16 v181, v164 offset:2208
	ds_load_u16 v189, v164 offset:2240
	ds_load_u16 v197, v164 offset:2272
	ds_load_u16 v75, v164 offset:1536
	ds_load_u16 v83, v164 offset:1568
	ds_load_u16 v91, v164 offset:1600
	ds_load_u16 v99, v164 offset:1632
	ds_load_u16 v107, v164 offset:1664
	ds_load_u16 v180, v164 offset:1696
	ds_load_u16 v188, v164 offset:1728
	ds_load_u16 v196, v164 offset:1760
	ds_load_u16 v74, v164 offset:1024
	ds_load_u16 v82, v164 offset:1056
	ds_load_u16 v90, v164 offset:1088
	ds_load_u16 v98, v164 offset:1120
	ds_load_u16 v106, v164 offset:1152
	ds_load_u16 v179, v164 offset:1184
	ds_load_u16 v187, v164 offset:1216
	ds_load_u16 v195, v164 offset:1248
	.loc	1 41 23                         ; attention_fwd.py:41:23
	v_cmp_gt_f32_e32 vcc_lo, 0xc2fc0000, v73
	v_cndmask_b32_e64 v73, 0, 0x42800000, vcc_lo
	s_delay_alu instid0(VALU_DEP_1) | instskip(NEXT) | instid1(VALU_DEP_1)
	v_fmac_f32_e32 v73, 0x3fb8aa3b, v72
	v_exp_f32_e32 v72, v73
	v_cndmask_b32_e64 v73, 0, 0xffffffc0, vcc_lo
	s_waitcnt_depctr depctr_va_vdst(0)
	v_ldexp_f32 v130, v72, v73
	.loc	1 45 20                         ; attention_fwd.py:45:20
	ds_load_u16 v73, v164 offset:512
	ds_load_u16 v72, v164
	ds_load_u16 v81, v164 offset:544
	ds_load_u16 v89, v164 offset:576
	;; [unrolled: 1-line block ×7, first 2 shown]
	s_waitcnt lgkmcnt(8)
	ds_load_u16_d16_hi v73, v164 offset:768
	ds_load_u16 v80, v164 offset:32
	ds_load_u16 v88, v164 offset:64
	;; [unrolled: 1-line block ×7, first 2 shown]
	s_waitcnt lgkmcnt(15)
	ds_load_u16_d16_hi v72, v164 offset:256
	.loc	1 43 20                         ; attention_fwd.py:43:20
	v_mul_f32_e32 v7, v7, v130
	v_mul_f32_e32 v6, v6, v130
	;; [unrolled: 1-line block ×8, first 2 shown]
	.loc	1 45 20                         ; attention_fwd.py:45:20
	ds_load_u16_d16_hi v79, v164 offset:3840
	ds_load_u16_d16_hi v87, v164 offset:3872
	;; [unrolled: 1-line block ×48, first 2 shown]
	s_waitcnt lgkmcnt(62)
	ds_load_u16_d16_hi v81, v164 offset:800
	ds_load_u16_d16_hi v89, v164 offset:832
	s_waitcnt lgkmcnt(62)
	ds_load_u16_d16_hi v97, v164 offset:864
	ds_load_u16_d16_hi v105, v164 offset:896
	;; [unrolled: 3-line block ×3, first 2 shown]
	s_waitcnt lgkmcnt(62)
	ds_load_u16_d16_hi v194, v164 offset:992
	s_waitcnt lgkmcnt(62)
	ds_load_u16_d16_hi v80, v164 offset:288
	;; [unrolled: 2-line block ×8, first 2 shown]
	.loc	1 43 20                         ; attention_fwd.py:43:20
	v_mul_f32_e32 v15, v15, v130
	v_mul_f32_e32 v14, v14, v130
	v_mul_f32_e32 v13, v13, v130
	v_mul_f32_e32 v12, v12, v130
	v_mul_f32_e32 v11, v11, v130
	v_mul_f32_e32 v10, v10, v130
	v_mul_f32_e32 v9, v9, v130
	v_mul_f32_e32 v8, v8, v130
	v_mul_f32_e32 v23, v23, v130
	v_mul_f32_e32 v22, v22, v130
	v_mul_f32_e32 v21, v21, v130
	v_mul_f32_e32 v20, v20, v130
	v_mul_f32_e32 v19, v19, v130
	v_mul_f32_e32 v18, v18, v130
	v_mul_f32_e32 v17, v17, v130
	v_mul_f32_e32 v16, v16, v130
	v_mul_f32_e32 v31, v31, v130
	v_mul_f32_e32 v30, v30, v130
	v_mul_f32_e32 v29, v29, v130
	v_mul_f32_e32 v28, v28, v130
	v_mul_f32_e32 v27, v27, v130
	v_mul_f32_e32 v26, v26, v130
	v_mul_f32_e32 v25, v25, v130
	v_mul_f32_e32 v24, v24, v130
	v_mul_f32_e32 v39, v39, v130
	v_mul_f32_e32 v38, v38, v130
	v_mul_f32_e32 v37, v37, v130
	v_mul_f32_e32 v36, v36, v130
	v_mul_f32_e32 v35, v35, v130
	v_mul_f32_e32 v34, v34, v130
	v_mul_f32_e32 v33, v33, v130
	v_mul_f32_e32 v32, v32, v130
	v_mul_f32_e32 v47, v47, v130
	v_mul_f32_e32 v46, v46, v130
	v_mul_f32_e32 v45, v45, v130
	v_mul_f32_e32 v44, v44, v130
	v_mul_f32_e32 v43, v43, v130
	v_mul_f32_e32 v42, v42, v130
	v_mul_f32_e32 v41, v41, v130
	v_mul_f32_e32 v40, v40, v130
	v_mul_f32_e32 v55, v55, v130
	v_mul_f32_e32 v54, v54, v130
	v_mul_f32_e32 v53, v53, v130
	v_mul_f32_e32 v52, v52, v130
	v_mul_f32_e32 v51, v51, v130
	v_mul_f32_e32 v50, v50, v130
	v_mul_f32_e32 v49, v49, v130
	v_mul_f32_e32 v48, v48, v130
	v_mul_f32_e32 v63, v63, v130
	v_mul_f32_e32 v62, v62, v130
	v_mul_f32_e32 v61, v61, v130
	v_mul_f32_e32 v60, v60, v130
	v_mul_f32_e32 v59, v59, v130
	v_mul_f32_e32 v58, v58, v130
	v_mul_f32_e32 v57, v57, v130
	v_mul_f32_e32 v56, v56, v130
	.loc	1 46 37                         ; attention_fwd.py:46:37
	s_waitcnt lgkmcnt(21)
	v_wmma_f32_16x16x16_f16 v[0:7], v[72:79], v[64:71], v[0:7]
	s_waitcnt lgkmcnt(6)
	v_wmma_f32_16x16x16_f16 v[8:15], v[80:87], v[64:71], v[8:15]
	;; [unrolled: 2-line block ×8, first 2 shown]
	.loc	1 46 27 is_stmt 0               ; attention_fwd.py:46:27
	v_perm_b32 v71, v156, v152, v139
	v_perm_b32 v70, v156, v152, v140
	;; [unrolled: 1-line block ×8, first 2 shown]
	.loc	1 45 20 is_stmt 1               ; attention_fwd.py:45:20
	ds_load_u16 v78, v164 offset:7168
	ds_load_u16 v79, v164 offset:7680
	;; [unrolled: 1-line block ×64, first 2 shown]
	s_waitcnt lgkmcnt(62)
	ds_load_u16_d16_hi v79, v164 offset:7936
	s_waitcnt lgkmcnt(62)
	ds_load_u16_d16_hi v87, v164 offset:7968
	;; [unrolled: 2-line block ×8, first 2 shown]
	ds_load_u16_d16_hi v78, v164 offset:7424
	ds_load_u16_d16_hi v86, v164 offset:7456
	;; [unrolled: 1-line block ×7, first 2 shown]
	s_waitcnt lgkmcnt(62)
	ds_load_u16_d16_hi v191, v164 offset:7648
	ds_load_u16_d16_hi v77, v164 offset:6912
	s_waitcnt lgkmcnt(62)
	ds_load_u16_d16_hi v85, v164 offset:6944
	ds_load_u16_d16_hi v93, v164 offset:6976
	;; [unrolled: 3-line block ×24, first 2 shown]
	s_waitcnt lgkmcnt(62)
	ds_load_u16_d16_hi v185, v164 offset:4576
	.loc	1 46 37                         ; attention_fwd.py:46:37
	s_waitcnt lgkmcnt(7)
	v_wmma_f32_16x16x16_f16 v[0:7], v[72:79], v[64:71], v[0:7]
	s_waitcnt lgkmcnt(6)
	v_wmma_f32_16x16x16_f16 v[8:15], v[80:87], v[64:71], v[8:15]
	;; [unrolled: 2-line block ×8, first 2 shown]
	.loc	1 46 27 is_stmt 0               ; attention_fwd.py:46:27
	v_perm_b32 v71, v148, v144, v139
	v_perm_b32 v70, v148, v144, v140
	v_perm_b32 v69, v147, v143, v139
	v_perm_b32 v68, v147, v143, v140
	v_perm_b32 v67, v146, v142, v139
	v_perm_b32 v66, v146, v142, v140
	v_perm_b32 v65, v145, v141, v139
	v_perm_b32 v64, v145, v141, v140
	.loc	1 45 20 is_stmt 1               ; attention_fwd.py:45:20
	ds_load_u16 v78, v164 offset:11264
	ds_load_u16 v79, v164 offset:11776
	;; [unrolled: 1-line block ×64, first 2 shown]
	s_waitcnt lgkmcnt(62)
	ds_load_u16_d16_hi v79, v164 offset:12032
	s_waitcnt lgkmcnt(62)
	ds_load_u16_d16_hi v87, v164 offset:12064
	;; [unrolled: 2-line block ×8, first 2 shown]
	ds_load_u16_d16_hi v78, v164 offset:11520
	ds_load_u16_d16_hi v86, v164 offset:11552
	;; [unrolled: 1-line block ×7, first 2 shown]
	s_waitcnt lgkmcnt(62)
	ds_load_u16_d16_hi v183, v164 offset:11744
	ds_load_u16_d16_hi v77, v164 offset:11008
	s_waitcnt lgkmcnt(62)
	ds_load_u16_d16_hi v85, v164 offset:11040
	ds_load_u16_d16_hi v93, v164 offset:11072
	;; [unrolled: 3-line block ×24, first 2 shown]
	s_waitcnt lgkmcnt(62)
	ds_load_u16_d16_hi v177, v164 offset:8672
	.loc	1 46 37                         ; attention_fwd.py:46:37
	s_waitcnt lgkmcnt(7)
	v_wmma_f32_16x16x16_f16 v[0:7], v[72:79], v[64:71], v[0:7]
	s_waitcnt lgkmcnt(6)
	v_wmma_f32_16x16x16_f16 v[8:15], v[80:87], v[64:71], v[8:15]
	;; [unrolled: 2-line block ×8, first 2 shown]
	.loc	1 46 27 is_stmt 0               ; attention_fwd.py:46:27
	v_perm_b32 v71, v138, v134, v139
	v_perm_b32 v70, v138, v134, v140
	;; [unrolled: 1-line block ×8, first 2 shown]
	.loc	1 45 20 is_stmt 1               ; attention_fwd.py:45:20
	ds_load_u16 v78, v164 offset:15360
	ds_load_u16 v79, v164 offset:15872
	;; [unrolled: 1-line block ×64, first 2 shown]
	s_waitcnt lgkmcnt(62)
	ds_load_u16_d16_hi v79, v164 offset:16128
	s_waitcnt lgkmcnt(62)
	ds_load_u16_d16_hi v87, v164 offset:16160
	;; [unrolled: 2-line block ×8, first 2 shown]
	ds_load_u16_d16_hi v78, v164 offset:15616
	ds_load_u16_d16_hi v86, v164 offset:15648
	;; [unrolled: 1-line block ×7, first 2 shown]
	s_waitcnt lgkmcnt(62)
	ds_load_u16_d16_hi v153, v164 offset:15840
	ds_load_u16_d16_hi v77, v164 offset:15104
	s_waitcnt lgkmcnt(62)
	ds_load_u16_d16_hi v85, v164 offset:15136
	ds_load_u16_d16_hi v93, v164 offset:15168
	;; [unrolled: 3-line block ×24, first 2 shown]
	s_waitcnt lgkmcnt(62)
	ds_load_u16_d16_hi v147, v164 offset:12768
	.loc	1 46 37                         ; attention_fwd.py:46:37
	s_waitcnt lgkmcnt(7)
	v_wmma_f32_16x16x16_f16 v[0:7], v[72:79], v[64:71], v[0:7]
	s_waitcnt lgkmcnt(6)
	v_wmma_f32_16x16x16_f16 v[8:15], v[80:87], v[64:71], v[8:15]
	;; [unrolled: 2-line block ×8, first 2 shown]
.Ltmp132:
	.loc	2 263 15                        ; standard.py:263:15 @[ standard.py:293:36 @[ attention_fwd.py:42:38 ] ]
	v_add_f32_e32 v64, v128, v129
	s_delay_alu instid0(VALU_DEP_1) | instskip(NEXT) | instid1(VALU_DEP_1)
.Ltmp133:
	.loc	1 42 28                         ; attention_fwd.py:42:28
	v_fmac_f32_e32 v64, v169, v130
	v_mov_b32_e32 v169, v64
	.loc	1 50 23                         ; attention_fwd.py:50:23
	s_mov_b32 s0, exec_lo
	.loc	1 21 47                         ; attention_fwd.py:21:47
	v_cmpx_gt_i32_e64 s100, v163
	s_cbranch_execz .LBB0_393
.LBB0_395:                              ; %.critedge
	.loc	1 20 54                         ; attention_fwd.py:20:54
	s_clause 0x1                            ; 8-byte Folded Reload
	scratch_load_b32 v203, off, off offset:76
	scratch_load_b32 v87, off, off offset:80
	.loc	1 49 39                         ; attention_fwd.py:49:39
	v_mul_lo_u32 v64, s64, v163
	.loc	1 48 16                         ; attention_fwd.py:48:16
	v_div_scale_f32 v66, null, v169, v169, v63
	v_div_scale_f32 v73, null, v169, v169, v61
	;; [unrolled: 1-line block ×3, first 2 shown]
	s_delay_alu instid0(VALU_DEP_3) | instskip(NEXT) | instid1(VALU_DEP_4)
	v_rcp_f32_e32 v67, v66
	.loc	1 49 21                         ; attention_fwd.py:49:21
	v_ashrrev_i32_e32 v65, 31, v64
	.loc	1 48 16                         ; attention_fwd.py:48:16
	v_div_scale_f32 v75, null, v169, v169, v60
	s_delay_alu instid0(VALU_DEP_3) | instskip(SKIP_1) | instid1(VALU_DEP_3)
	v_rcp_f32_e32 v71, v69
	v_div_scale_f32 v80, s1, v61, v169, v61
	.loc	1 49 21                         ; attention_fwd.py:49:21
	v_lshlrev_b64 v[64:65], 1, v[64:65]
	s_delay_alu instid0(VALU_DEP_3) | instskip(SKIP_1) | instid1(TRANS32_DEP_3)
	.loc	1 48 16                         ; attention_fwd.py:48:16
	v_rcp_f32_e32 v76, v75
	.loc	1 49 69                         ; attention_fwd.py:49:69
	v_mul_lo_u32 v126, s65, v126
	.loc	1 48 16                         ; attention_fwd.py:48:16
	v_fma_f32 v68, -v66, v67, 1.0
	.loc	1 49 69                         ; attention_fwd.py:49:69
	v_mul_lo_u32 v125, s65, v125
	v_mul_lo_u32 v166, s65, v166
	.loc	1 49 21 is_stmt 0               ; attention_fwd.py:49:21
	v_add_co_u32 v64, vcc_lo, s68, v64
	s_delay_alu instid0(VALU_DEP_1)
	v_add_co_ci_u32_e64 v65, null, s69, v65, vcc_lo
	.loc	1 48 16 is_stmt 1               ; attention_fwd.py:48:16
	v_fmac_f32_e32 v67, v68, v67
	v_div_scale_f32 v68, vcc_lo, v63, v169, v63
	v_fma_f32 v74, -v69, v71, 1.0
	.loc	1 49 69                         ; attention_fwd.py:49:69
	v_mul_lo_u32 v124, s65, v124
	v_mul_lo_u32 v165, s65, v165
	s_delay_alu instid0(VALU_DEP_4)
	.loc	1 48 16                         ; attention_fwd.py:48:16
	v_mul_f32_e32 v70, v68, v67
	.loc	1 49 69                         ; attention_fwd.py:49:69
	v_mul_lo_u32 v123, s65, v123
	v_mul_lo_u32 v122, s65, v122
	;; [unrolled: 1-line block ×4, first 2 shown]
	.loc	1 48 16                         ; attention_fwd.py:48:16
	v_fma_f32 v72, -v66, v70, v68
	.loc	1 49 69                         ; attention_fwd.py:49:69
	v_mul_lo_u32 v119, s65, v119
	v_mul_lo_u32 v117, s65, v117
	;; [unrolled: 1-line block ×4, first 2 shown]
	.loc	1 48 16                         ; attention_fwd.py:48:16
	v_fmac_f32_e32 v70, v72, v67
	v_rcp_f32_e32 v72, v73
	.loc	1 49 69                         ; attention_fwd.py:49:69
	v_mul_lo_u32 v191, s65, v115
	v_mul_lo_u32 v114, s65, v114
	;; [unrolled: 1-line block ×3, first 2 shown]
	.loc	1 48 16                         ; attention_fwd.py:48:16
	v_fma_f32 v66, -v66, v70, v68
	.loc	1 49 51                         ; attention_fwd.py:49:51
	v_ashrrev_i32_e32 v118, 31, v117
	v_ashrrev_i32_e32 v188, 31, v187
	;; [unrolled: 1-line block ×3, first 2 shown]
	s_delay_alu instid0(TRANS32_DEP_1) | instskip(NEXT) | instid1(VALU_DEP_4)
	.loc	1 48 16                         ; attention_fwd.py:48:16
	v_fma_f32 v77, -v73, v72, 1.0
	.loc	1 49 51                         ; attention_fwd.py:49:51
	v_lshlrev_b64 v[193:194], 1, v[117:118]
	v_ashrrev_i32_e32 v117, 31, v116
	v_lshlrev_b64 v[187:188], 1, v[187:188]
	s_delay_alu instid0(VALU_DEP_4) | instskip(SKIP_4) | instid1(VALU_DEP_4)
	.loc	1 48 16                         ; attention_fwd.py:48:16
	v_fmac_f32_e32 v72, v77, v72
	v_div_scale_f32 v77, null, v169, v169, v59
	v_fmac_f32_e32 v71, v74, v71
	v_div_scale_f32 v74, s0, v62, v169, v62
	v_div_fmas_f32 v66, v66, v67, v70
	v_rcp_f32_e32 v83, v77
	v_fma_f32 v70, -v75, v76, 1.0
	s_mov_b32 vcc_lo, s0
	.loc	1 49 51                         ; attention_fwd.py:49:51
	v_lshlrev_b64 v[115:116], 1, v[116:117]
	.loc	1 48 16                         ; attention_fwd.py:48:16
	v_div_fixup_f32 v63, v66, v169, v63
	v_mul_f32_e32 v66, v80, v72
	v_mul_f32_e32 v68, v74, v71
	.loc	1 49 51                         ; attention_fwd.py:49:51
	v_lshlrev_b64 v[117:118], 1, v[191:192]
	.loc	1 49 69 is_stmt 0               ; attention_fwd.py:49:69
	v_mul_lo_u32 v191, s65, v113
	.loc	1 50 30 is_stmt 1               ; attention_fwd.py:50:30
	v_cvt_f16_f32_e32 v63, v63
	.loc	1 48 16                         ; attention_fwd.py:48:16
	v_fma_f32 v88, -v77, v83, 1.0
	v_fma_f32 v67, -v69, v68, v74
	v_fmac_f32_e32 v76, v70, v76
	v_div_scale_f32 v70, s2, v60, v169, v60
	s_delay_alu instid0(VALU_DEP_4) | instskip(NEXT) | instid1(VALU_DEP_4)
	v_fmac_f32_e32 v83, v88, v83
	v_fmac_f32_e32 v68, v67, v71
	v_div_scale_f32 v88, null, v169, v169, v46
	s_delay_alu instid0(VALU_DEP_4) | instskip(SKIP_1) | instid1(VALU_DEP_4)
	v_mul_f32_e32 v67, v70, v76
	.loc	1 49 51                         ; attention_fwd.py:49:51
	v_ashrrev_i32_e32 v192, 31, v191
	.loc	1 48 16                         ; attention_fwd.py:48:16
	v_fma_f32 v69, -v69, v68, v74
	v_fma_f32 v74, -v73, v66, v80
	s_delay_alu instid0(VALU_DEP_3) | instskip(NEXT) | instid1(VALU_DEP_3)
	.loc	1 49 51                         ; attention_fwd.py:49:51
	v_lshlrev_b64 v[191:192], 1, v[191:192]
	.loc	1 48 16                         ; attention_fwd.py:48:16
	v_div_fmas_f32 v68, v69, v71, v68
	s_delay_alu instid0(VALU_DEP_3)
	v_fmac_f32_e32 v66, v74, v72
	v_div_scale_f32 v69, null, v169, v169, v58
	s_mov_b32 vcc_lo, s1
	v_div_fixup_f32 v62, v68, v169, v62
	v_fma_f32 v68, -v73, v66, v80
	v_rcp_f32_e32 v73, v69
	v_div_scale_f32 v71, s0, v59, v169, v59
	s_delay_alu instid0(VALU_DEP_2) | instskip(SKIP_2) | instid1(VALU_DEP_2)
	v_div_fmas_f32 v66, v68, v72, v66
	s_mov_b32 vcc_lo, s2
	v_div_scale_f32 v72, null, v169, v169, v57
	v_div_fixup_f32 v61, v66, v169, v61
	s_delay_alu instid0(VALU_DEP_1)
	.loc	1 50 30                         ; attention_fwd.py:50:30
	v_cvt_f16_f32_e32 v61, v61
	.loc	1 20 54                         ; attention_fwd.py:20:54
	s_waitcnt vmcnt(1)
	v_or_b32_e32 v143, 0x7c, v203
	s_waitcnt vmcnt(0)
	v_or_b32_e32 v145, 0x7e, v87
	.loc	1 48 16                         ; attention_fwd.py:48:16
	v_fma_f32 v87, -v75, v67, v70
	.loc	1 20 54                         ; attention_fwd.py:20:54
	v_or_b32_e32 v140, 0x7a, v203
	v_or_b32_e32 v137, 0x76, v203
	;; [unrolled: 1-line block ×4, first 2 shown]
	.loc	1 48 16                         ; attention_fwd.py:48:16
	v_fmac_f32_e32 v67, v87, v76
	.loc	1 20 54                         ; attention_fwd.py:20:54
	v_or_b32_e32 v134, 0x72, v203
	v_or_b32_e32 v131, 0x6e, v203
	;; [unrolled: 1-line block ×4, first 2 shown]
	.loc	1 48 16                         ; attention_fwd.py:48:16
	v_fma_f32 v70, -v75, v67, v70
	.loc	1 20 54                         ; attention_fwd.py:20:54
	v_or_b32_e32 v128, 0x6a, v203
	v_or_b32_e32 v107, 0x66, v203
	;; [unrolled: 1-line block ×4, first 2 shown]
	.loc	1 48 16                         ; attention_fwd.py:48:16
	v_div_fmas_f32 v67, v70, v76, v67
	v_fma_f32 v70, -v69, v73, 1.0
	v_mul_f32_e32 v74, v71, v83
	s_mov_b32 vcc_lo, s0
	.loc	1 20 54                         ; attention_fwd.py:20:54
	v_or_b32_e32 v104, 0x62, v203
	.loc	1 48 16                         ; attention_fwd.py:48:16
	v_div_fixup_f32 v66, v67, v169, v60
	v_rcp_f32_e32 v67, v72
	v_fmac_f32_e32 v73, v70, v73
	v_fma_f32 v68, -v77, v74, v71
	.loc	1 50 30                         ; attention_fwd.py:50:30
	v_cvt_f16_f32_e32 v60, v62
	v_cvt_f16_f32_e32 v62, v66
	.loc	1 20 54                         ; attention_fwd.py:20:54
	v_or_b32_e32 v102, 0x5e, v203
	v_or_b32_e32 v103, 0x60, v203
	.loc	1 48 16                         ; attention_fwd.py:48:16
	v_fmac_f32_e32 v74, v68, v83
	v_div_scale_f32 v68, s1, v58, v169, v58
	s_delay_alu instid0(TRANS32_DEP_1) | instskip(SKIP_1) | instid1(VALU_DEP_4)
	v_fma_f32 v75, -v72, v67, 1.0
	.loc	1 20 54                         ; attention_fwd.py:20:54
	v_or_b32_e32 v101, 0x5c, v203
	.loc	1 48 16                         ; attention_fwd.py:48:16
	v_fma_f32 v66, -v77, v74, v71
	v_div_scale_f32 v71, null, v169, v169, v56
	s_delay_alu instid0(VALU_DEP_4) | instskip(SKIP_4) | instid1(VALU_DEP_3)
	v_fmac_f32_e32 v67, v75, v67
	v_div_scale_f32 v75, s0, v57, v169, v57
	v_mul_f32_e32 v70, v68, v73
	v_div_fmas_f32 v66, v66, v83, v74
	v_rcp_f32_e32 v74, v71
	v_mul_f32_e32 v77, v75, v67
	s_mov_b32 vcc_lo, s1
	v_fma_f32 v76, -v69, v70, v68
	v_div_fixup_f32 v59, v66, v169, v59
	v_div_scale_f32 v83, null, v169, v169, v53
	.loc	1 20 54                         ; attention_fwd.py:20:54
	v_or_b32_e32 v99, 0x5a, v203
	s_delay_alu instid0(VALU_DEP_4) | instskip(SKIP_3) | instid1(VALU_DEP_4)
	.loc	1 48 16                         ; attention_fwd.py:48:16
	v_fmac_f32_e32 v70, v76, v73
	v_div_scale_f32 v76, null, v169, v169, v55
	.loc	1 50 30                         ; attention_fwd.py:50:30
	v_cvt_f16_f32_e32 v66, v59
	.loc	1 48 16                         ; attention_fwd.py:48:16
	v_fma_f32 v80, -v71, v74, 1.0
	v_fma_f32 v59, -v69, v70, v68
	s_delay_alu instid0(VALU_DEP_4)
	v_rcp_f32_e32 v69, v76
	v_fma_f32 v68, -v72, v77, v75
	.loc	1 20 54                         ; attention_fwd.py:20:54
	v_or_b32_e32 v97, 0x56, v203
	.loc	1 48 16                         ; attention_fwd.py:48:16
	v_fmac_f32_e32 v74, v80, v74
	v_div_fmas_f32 v59, v59, v73, v70
	v_div_scale_f32 v73, null, v169, v169, v54
	v_div_scale_f32 v80, s2, v56, v169, v56
	s_delay_alu instid0(VALU_DEP_3) | instskip(NEXT) | instid1(TRANS32_DEP_1)
	v_div_fixup_f32 v58, v59, v169, v58
	v_fma_f32 v70, -v76, v69, 1.0
	s_mov_b32 vcc_lo, s0
	.loc	1 20 54                         ; attention_fwd.py:20:54
	v_or_b32_e32 v98, 0x58, v203
	v_or_b32_e32 v93, 0x54, v203
	;; [unrolled: 1-line block ×3, first 2 shown]
	.loc	1 48 16                         ; attention_fwd.py:48:16
	v_fmac_f32_e32 v69, v70, v69
	v_rcp_f32_e32 v70, v73
	.loc	1 20 54                         ; attention_fwd.py:20:54
	v_or_b32_e32 v90, 0x4e, v203
	v_or_b32_e32 v91, 0x50, v203
	;; [unrolled: 1-line block ×9, first 2 shown]
	.loc	1 48 16                         ; attention_fwd.py:48:16
	v_fma_f32 v87, -v73, v70, 1.0
	v_fmac_f32_e32 v77, v68, v67
	v_mul_f32_e32 v68, v80, v74
	.loc	1 49 69                         ; attention_fwd.py:49:69
	v_mul_lo_u32 v81, s65, v81
	v_mul_lo_u32 v78, s65, v78
	.loc	1 48 16                         ; attention_fwd.py:48:16
	v_fmac_f32_e32 v70, v87, v70
	v_fma_f32 v59, -v72, v77, v75
	v_fma_f32 v72, -v71, v68, v80
	v_div_scale_f32 v75, s1, v55, v169, v55
	v_div_scale_f32 v87, null, v169, v169, v52
	s_delay_alu instid0(VALU_DEP_3)
	v_fmac_f32_e32 v68, v72, v74
	v_rcp_f32_e32 v72, v83
	v_div_fmas_f32 v59, v59, v67, v77
	v_mul_f32_e32 v77, v75, v69
	.loc	1 50 30                         ; attention_fwd.py:50:30
	v_cvt_f16_f32_e32 v67, v58
	.loc	1 48 16                         ; attention_fwd.py:48:16
	v_fma_f32 v58, -v71, v68, v80
	v_div_scale_f32 v71, s0, v54, v169, v54
	v_div_fixup_f32 v57, v59, v169, v57
	v_fma_f32 v59, -v76, v77, v75
	s_mov_b32 vcc_lo, s2
	s_delay_alu instid0(TRANS32_DEP_1)
	v_fma_f32 v80, -v83, v72, 1.0
	v_div_fmas_f32 v58, v58, v74, v68
	.loc	1 50 30                         ; attention_fwd.py:50:30
	v_cvt_f16_f32_e32 v68, v57
	.loc	1 48 16                         ; attention_fwd.py:48:16
	v_fmac_f32_e32 v77, v59, v69
	v_rcp_f32_e32 v59, v87
	v_fmac_f32_e32 v72, v80, v72
	v_div_scale_f32 v80, s2, v53, v169, v53
	v_mul_f32_e32 v74, v71, v70
	v_div_fixup_f32 v56, v58, v169, v56
	v_fma_f32 v57, -v76, v77, v75
	s_delay_alu instid0(VALU_DEP_4) | instskip(SKIP_2) | instid1(TRANS32_DEP_1)
	v_mul_f32_e32 v75, v80, v72
	s_mov_b32 vcc_lo, s1
	v_fma_f32 v58, -v73, v74, v71
	v_fma_f32 v76, -v87, v59, 1.0
	v_div_fmas_f32 v57, v57, v69, v77
	.loc	1 50 30                         ; attention_fwd.py:50:30
	v_cvt_f16_f32_e32 v69, v56
	.loc	1 48 16                         ; attention_fwd.py:48:16
	s_mov_b32 vcc_lo, s0
	s_delay_alu instid0(VALU_DEP_3) | instskip(SKIP_2) | instid1(VALU_DEP_3)
	v_dual_fmac_f32 v74, v58, v70 :: v_dual_fmac_f32 v59, v76, v59
	v_fma_f32 v58, -v83, v75, v80
	v_div_scale_f32 v76, s1, v52, v169, v52
	v_fma_f32 v56, -v73, v74, v71
	v_div_fixup_f32 v55, v57, v169, v55
	s_delay_alu instid0(VALU_DEP_4) | instskip(SKIP_1) | instid1(VALU_DEP_4)
	v_fmac_f32_e32 v75, v58, v72
	v_div_scale_f32 v58, null, v169, v169, v51
	v_div_fmas_f32 v56, v56, v70, v74
	s_mov_b32 vcc_lo, s2
	s_delay_alu instid0(VALU_DEP_3) | instskip(SKIP_1) | instid1(VALU_DEP_3)
	v_fma_f32 v71, -v83, v75, v80
	v_div_scale_f32 v74, null, v169, v169, v50
	v_div_fixup_f32 v54, v56, v169, v54
	.loc	1 50 30                         ; attention_fwd.py:50:30
	v_cvt_f16_f32_e32 v70, v55
	s_delay_alu instid0(VALU_DEP_4)
	.loc	1 48 16                         ; attention_fwd.py:48:16
	v_div_fmas_f32 v56, v71, v72, v75
	v_rcp_f32_e32 v55, v58
	s_mov_b32 vcc_lo, s1
	.loc	1 50 30                         ; attention_fwd.py:50:30
	v_cvt_f16_f32_e32 v71, v54
	.loc	1 48 16                         ; attention_fwd.py:48:16
	v_div_scale_f32 v75, s0, v51, v169, v51
	v_div_fixup_f32 v53, v56, v169, v53
	v_rcp_f32_e32 v56, v74
	v_mul_f32_e32 v57, v76, v59
	v_div_scale_f32 v83, null, v169, v169, v47
	s_delay_alu instid0(TRANS32_DEP_2) | instskip(SKIP_1) | instid1(VALU_DEP_4)
	v_fma_f32 v72, -v58, v55, 1.0
	.loc	1 49 69                         ; attention_fwd.py:49:69
	v_mul_lo_u32 v203, s65, v203
	.loc	1 48 16                         ; attention_fwd.py:48:16
	v_fma_f32 v73, -v87, v57, v76
	s_delay_alu instid0(VALU_DEP_1) | instskip(NEXT) | instid1(VALU_DEP_3)
	v_fmac_f32_e32 v57, v73, v59
	.loc	1 49 51                         ; attention_fwd.py:49:51
	v_ashrrev_i32_e32 v204, 31, v203
	s_delay_alu instid0(VALU_DEP_2) | instskip(SKIP_2) | instid1(VALU_DEP_2)
	.loc	1 48 16                         ; attention_fwd.py:48:16
	v_fma_f32 v54, -v87, v57, v76
	v_div_scale_f32 v76, null, v169, v169, v49
	v_rcp_f32_e32 v87, v83
	v_div_fmas_f32 v54, v54, v59, v57
	v_fma_f32 v59, -v74, v56, 1.0
	s_delay_alu instid0(VALU_DEP_3) | instskip(SKIP_1) | instid1(VALU_DEP_2)
	v_rcp_f32_e32 v77, v76
	s_mov_b32 vcc_lo, s0
	v_div_fixup_f32 v52, v54, v169, v52
	s_delay_alu instid0(VALU_DEP_2) | instskip(SKIP_2) | instid1(VALU_DEP_4)
	v_fmac_f32_e32 v56, v59, v56
	v_div_scale_f32 v54, s1, v50, v169, v50
	v_fmac_f32_e32 v55, v72, v55
	.loc	1 50 30                         ; attention_fwd.py:50:30
	v_cvt_f16_f32_e32 v73, v52
	v_cvt_f16_f32_e32 v72, v53
	s_delay_alu instid0(VALU_DEP_4) | instskip(SKIP_2) | instid1(VALU_DEP_2)
	.loc	1 48 16                         ; attention_fwd.py:48:16
	v_mul_f32_e32 v52, v54, v56
	v_div_scale_f32 v59, null, v169, v169, v48
	v_mul_f32_e32 v57, v75, v55
	v_rcp_f32_e32 v80, v59
	s_delay_alu instid0(VALU_DEP_1) | instskip(NEXT) | instid1(VALU_DEP_1)
	v_fma_f32 v53, -v58, v57, v75
	v_fmac_f32_e32 v57, v53, v55
	v_fma_f32 v53, -v76, v77, 1.0
	s_delay_alu instid0(VALU_DEP_2) | instskip(NEXT) | instid1(VALU_DEP_2)
	v_fma_f32 v58, -v58, v57, v75
	v_fmac_f32_e32 v77, v53, v77
	v_div_scale_f32 v53, s2, v49, v169, v49
	v_fma_f32 v75, -v74, v52, v54
	s_delay_alu instid0(VALU_DEP_4) | instskip(NEXT) | instid1(TRANS32_DEP_1)
	v_div_fmas_f32 v55, v58, v55, v57
	v_fma_f32 v58, -v59, v80, 1.0
	s_delay_alu instid0(VALU_DEP_4) | instskip(SKIP_3) | instid1(VALU_DEP_3)
	v_mul_f32_e32 v57, v53, v77
	s_mov_b32 vcc_lo, s1
	v_fmac_f32_e32 v52, v75, v56
	v_div_fixup_f32 v51, v55, v169, v51
	v_fma_f32 v75, -v76, v57, v53
	v_fmac_f32_e32 v80, v58, v80
	s_delay_alu instid0(VALU_DEP_4) | instskip(SKIP_1) | instid1(VALU_DEP_4)
	v_fma_f32 v54, -v74, v52, v54
	v_div_scale_f32 v58, s0, v48, v169, v48
	v_fmac_f32_e32 v57, v75, v77
	.loc	1 50 30                         ; attention_fwd.py:50:30
	v_cvt_f16_f32_e32 v74, v51
	s_delay_alu instid0(VALU_DEP_4) | instskip(SKIP_3) | instid1(VALU_DEP_3)
	.loc	1 48 16                         ; attention_fwd.py:48:16
	v_div_fmas_f32 v52, v54, v56, v52
	v_fma_f32 v56, -v83, v87, 1.0
	s_mov_b32 vcc_lo, s2
	v_fma_f32 v53, -v76, v57, v53
	v_div_fixup_f32 v50, v52, v169, v50
	s_delay_alu instid0(VALU_DEP_3) | instskip(SKIP_4) | instid1(VALU_DEP_3)
	v_fmac_f32_e32 v87, v56, v87
	v_div_scale_f32 v56, s1, v47, v169, v47
	v_mul_f32_e32 v55, v58, v80
	v_div_fmas_f32 v53, v53, v77, v57
	s_mov_b32 vcc_lo, s0
	v_mul_f32_e32 v52, v56, v87
	.loc	1 50 30                         ; attention_fwd.py:50:30
	v_cvt_f16_f32_e32 v75, v50
	.loc	1 48 16                         ; attention_fwd.py:48:16
	v_fma_f32 v54, -v59, v55, v58
	v_div_fixup_f32 v49, v53, v169, v49
	v_div_scale_f32 v53, null, v169, v169, v45
	s_delay_alu instid0(VALU_DEP_3) | instskip(SKIP_1) | instid1(VALU_DEP_3)
	v_fmac_f32_e32 v55, v54, v80
	v_rcp_f32_e32 v54, v88
	.loc	1 50 30                         ; attention_fwd.py:50:30
	v_cvt_f16_f32_e32 v76, v49
	.loc	1 48 16                         ; attention_fwd.py:48:16
	s_waitcnt_depctr depctr_va_vdst(0)
	v_fma_f32 v57, -v88, v54, 1.0
	s_delay_alu instid0(VALU_DEP_1) | instskip(SKIP_3) | instid1(VALU_DEP_3)
	v_fmac_f32_e32 v54, v57, v54
	v_fma_f32 v51, -v59, v55, v58
	v_fma_f32 v58, -v83, v52, v56
	v_div_scale_f32 v57, s0, v46, v169, v46
	v_div_fmas_f32 v51, v51, v80, v55
	v_rcp_f32_e32 v55, v53
	s_delay_alu instid0(VALU_DEP_2) | instskip(SKIP_1) | instid1(VALU_DEP_2)
	v_mul_f32_e32 v49, v57, v54
	s_mov_b32 vcc_lo, s1
	v_div_fixup_f32 v48, v51, v169, v48
	v_div_scale_f32 v51, null, v169, v169, v44
	s_delay_alu instid0(VALU_DEP_2) | instskip(SKIP_2) | instid1(VALU_DEP_1)
	.loc	1 50 30                         ; attention_fwd.py:50:30
	v_cvt_f16_f32_e32 v77, v48
	.loc	1 48 16                         ; attention_fwd.py:48:16
	s_waitcnt_depctr depctr_va_vdst(0)
	v_fma_f32 v50, -v53, v55, 1.0
	v_fmac_f32_e32 v55, v50, v55
	v_rcp_f32_e32 v50, v51
	s_waitcnt_depctr depctr_va_vdst(0)
	v_fma_f32 v59, -v51, v50, 1.0
	s_delay_alu instid0(VALU_DEP_1) | instskip(SKIP_3) | instid1(VALU_DEP_3)
	v_fmac_f32_e32 v50, v59, v50
	v_fmac_f32_e32 v52, v58, v87
	v_div_scale_f32 v58, s2, v45, v169, v45
	v_div_scale_f32 v59, s1, v44, v169, v44
	v_fma_f32 v48, -v83, v52, v56
	v_fma_f32 v56, -v88, v49, v57
	s_delay_alu instid0(VALU_DEP_2) | instskip(NEXT) | instid1(VALU_DEP_2)
	v_div_fmas_f32 v48, v48, v87, v52
	v_dual_fmac_f32 v49, v56, v54 :: v_dual_mul_f32 v56, v58, v55
	v_div_scale_f32 v52, null, v169, v169, v43
	s_delay_alu instid0(VALU_DEP_3) | instskip(NEXT) | instid1(VALU_DEP_3)
	v_div_fixup_f32 v47, v48, v169, v47
	v_fma_f32 v48, -v88, v49, v57
	s_delay_alu instid0(VALU_DEP_4) | instskip(NEXT) | instid1(VALU_DEP_4)
	v_fma_f32 v80, -v53, v56, v58
	v_rcp_f32_e32 v57, v52
	s_mov_b32 vcc_lo, s0
	s_delay_alu instid0(VALU_DEP_2) | instskip(NEXT) | instid1(VALU_DEP_2)
	v_div_fmas_f32 v48, v48, v54, v49
	v_dual_fmac_f32 v56, v80, v55 :: v_dual_mul_f32 v49, v59, v50
	.loc	1 50 30                         ; attention_fwd.py:50:30
	v_cvt_f16_f32_e32 v80, v47
	.loc	1 48 16                         ; attention_fwd.py:48:16
	s_mov_b32 vcc_lo, s2
	s_delay_alu instid0(VALU_DEP_3) | instskip(NEXT) | instid1(VALU_DEP_3)
	v_div_fixup_f32 v46, v48, v169, v46
	v_fma_f32 v47, -v53, v56, v58
	s_waitcnt_depctr depctr_va_vdst(0)
	v_fma_f32 v54, -v52, v57, 1.0
	v_fma_f32 v48, -v51, v49, v59
	v_div_scale_f32 v53, s0, v43, v169, v43
	.loc	1 50 30                         ; attention_fwd.py:50:30
	v_cvt_f16_f32_e32 v83, v46
	s_delay_alu instid0(VALU_DEP_4) | instskip(SKIP_1) | instid1(VALU_DEP_2)
	.loc	1 48 16                         ; attention_fwd.py:48:16
	v_fmac_f32_e32 v57, v54, v57
	v_div_scale_f32 v54, null, v169, v169, v42
	v_dual_fmac_f32 v49, v48, v50 :: v_dual_mul_f32 v48, v53, v57
	v_div_fmas_f32 v47, v47, v55, v56
	s_delay_alu instid0(VALU_DEP_3) | instskip(SKIP_2) | instid1(VALU_DEP_2)
	v_rcp_f32_e32 v55, v54
	s_mov_b32 vcc_lo, s1
	v_div_scale_f32 v56, null, v169, v169, v39
	v_div_fixup_f32 v45, v47, v169, v45
	v_fma_f32 v47, -v52, v48, v53
	s_delay_alu instid0(VALU_DEP_3) | instskip(NEXT) | instid1(VALU_DEP_2)
	v_rcp_f32_e32 v58, v56
	.loc	1 50 30                         ; attention_fwd.py:50:30
	v_cvt_f16_f32_e32 v87, v45
	s_delay_alu instid0(VALU_DEP_2) | instskip(SKIP_2) | instid1(VALU_DEP_2)
	.loc	1 48 16                         ; attention_fwd.py:48:16
	v_fmac_f32_e32 v48, v47, v57
	v_fma_f32 v46, -v51, v49, v59
	v_div_scale_f32 v51, null, v169, v169, v41
	v_div_fmas_f32 v46, v46, v50, v49
	v_fma_f32 v49, -v54, v55, 1.0
	s_mov_b32 vcc_lo, s0
	s_delay_alu instid0(VALU_DEP_3) | instskip(SKIP_1) | instid1(VALU_DEP_2)
	v_rcp_f32_e32 v47, v51
	v_div_scale_f32 v50, null, v169, v169, v40
	v_fmac_f32_e32 v55, v49, v55
	v_div_scale_f32 v49, s1, v42, v169, v42
	v_div_fixup_f32 v44, v46, v169, v44
	v_fma_f32 v46, -v52, v48, v53
	v_rcp_f32_e32 v45, v50
	s_delay_alu instid0(VALU_DEP_3) | instskip(NEXT) | instid1(TRANS32_DEP_2)
	v_mul_f32_e32 v52, v49, v55
	v_fma_f32 v53, -v51, v47, 1.0
	.loc	1 50 30                         ; attention_fwd.py:50:30
	v_cvt_f16_f32_e32 v88, v44
	.loc	1 48 16                         ; attention_fwd.py:48:16
	v_div_fmas_f32 v46, v46, v57, v48
	v_div_scale_f32 v57, s0, v41, v169, v41
	v_fma_f32 v48, -v54, v52, v49
	s_mov_b32 vcc_lo, s1
	s_delay_alu instid0(VALU_DEP_3) | instskip(NEXT) | instid1(VALU_DEP_2)
	v_div_fixup_f32 v43, v46, v169, v43
	v_fmac_f32_e32 v52, v48, v55
	s_delay_alu instid0(VALU_DEP_2) | instskip(NEXT) | instid1(VALU_DEP_2)
	.loc	1 50 30                         ; attention_fwd.py:50:30
	v_cvt_f16_f32_e32 v89, v43
	.loc	1 48 16                         ; attention_fwd.py:48:16
	v_fma_f32 v43, -v54, v52, v49
	v_fma_f32 v54, -v56, v58, 1.0
	s_delay_alu instid0(VALU_DEP_1) | instskip(SKIP_1) | instid1(VALU_DEP_4)
	v_dual_fmac_f32 v58, v54, v58 :: v_dual_fmac_f32 v47, v53, v47
	v_fma_f32 v53, -v50, v45, 1.0
	v_div_fmas_f32 v43, v43, v55, v52
	s_mov_b32 vcc_lo, s0
	.loc	1 49 69                         ; attention_fwd.py:49:69
	v_mul_lo_u32 v54, s65, v86
	.loc	1 48 16                         ; attention_fwd.py:48:16
	v_mul_f32_e32 v46, v57, v47
	v_div_scale_f32 v86, null, v169, v169, v0
	v_div_fixup_f32 v42, v43, v169, v42
	s_delay_alu instid0(VALU_DEP_3) | instskip(SKIP_2) | instid1(VALU_DEP_4)
	v_fma_f32 v44, -v51, v46, v57
	v_fmac_f32_e32 v45, v53, v45
	v_div_scale_f32 v53, s2, v40, v169, v40
	.loc	1 50 30                         ; attention_fwd.py:50:30
	v_cvt_f16_f32_e32 v94, v42
	s_delay_alu instid0(VALU_DEP_4) | instskip(SKIP_2) | instid1(VALU_DEP_3)
	.loc	1 48 16                         ; attention_fwd.py:48:16
	v_fmac_f32_e32 v46, v44, v47
	v_div_scale_f32 v44, null, v169, v169, v38
	v_div_scale_f32 v42, null, v169, v169, v36
	v_fma_f32 v43, -v51, v46, v57
	s_delay_alu instid0(VALU_DEP_3) | instskip(SKIP_1) | instid1(VALU_DEP_2)
	v_rcp_f32_e32 v51, v44
	.loc	1 49 51                         ; attention_fwd.py:49:51
	v_ashrrev_i32_e32 v55, 31, v54
	.loc	1 48 16                         ; attention_fwd.py:48:16
	v_div_fmas_f32 v43, v43, v47, v46
	s_mov_b32 vcc_lo, s2
	s_delay_alu instid0(VALU_DEP_2) | instskip(NEXT) | instid1(VALU_DEP_2)
	.loc	1 49 51                         ; attention_fwd.py:49:51
	v_lshlrev_b64 v[54:55], 1, v[54:55]
	.loc	1 48 16                         ; attention_fwd.py:48:16
	v_div_fixup_f32 v41, v43, v169, v41
	s_waitcnt_depctr depctr_va_vdst(0)
	v_fma_f32 v47, -v44, v51, 1.0
	v_mul_f32_e32 v48, v53, v45
	.loc	1 50 30                         ; attention_fwd.py:50:30
	v_cvt_f16_f32_e32 v95, v41
	s_delay_alu instid0(VALU_DEP_3) | instskip(NEXT) | instid1(VALU_DEP_3)
	.loc	1 48 16                         ; attention_fwd.py:48:16
	v_fmac_f32_e32 v51, v47, v51
	v_fma_f32 v49, -v50, v48, v53
	v_rcp_f32_e32 v47, v42
	s_delay_alu instid0(VALU_DEP_1) | instskip(SKIP_1) | instid1(VALU_DEP_2)
	v_fmac_f32_e32 v48, v49, v45
	v_div_scale_f32 v49, s1, v39, v169, v39
	v_fma_f32 v50, -v50, v48, v53
	s_delay_alu instid0(VALU_DEP_2) | instskip(NEXT) | instid1(VALU_DEP_2)
	v_mul_f32_e32 v52, v49, v58
	v_div_fmas_f32 v45, v50, v45, v48
	s_delay_alu instid0(VALU_DEP_2)
	v_fma_f32 v46, -v56, v52, v49
	v_div_scale_f32 v48, null, v169, v169, v37
	s_mov_b32 vcc_lo, s1
	v_div_fixup_f32 v40, v45, v169, v40
	v_fmac_f32_e32 v52, v46, v58
	v_rcp_f32_e32 v43, v48
	v_div_scale_f32 v45, s0, v38, v169, v38
	s_delay_alu instid0(VALU_DEP_3) | instskip(NEXT) | instid1(VALU_DEP_3)
	.loc	1 50 30                         ; attention_fwd.py:50:30
	v_cvt_f16_f32_e32 v96, v40
	.loc	1 48 16                         ; attention_fwd.py:48:16
	v_fma_f32 v40, -v56, v52, v49
	v_fma_f32 v50, -v42, v47, 1.0
	s_delay_alu instid0(VALU_DEP_4) | instskip(SKIP_3) | instid1(TRANS32_DEP_1)
	v_mul_f32_e32 v41, v45, v51
	.loc	1 49 69                         ; attention_fwd.py:49:69
	v_mul_lo_u32 v56, s65, v84
	v_mul_lo_u32 v84, s65, v82
	.loc	1 48 16                         ; attention_fwd.py:48:16
	v_div_fmas_f32 v40, v40, v58, v52
	v_fma_f32 v46, -v48, v43, 1.0
	v_fma_f32 v49, -v44, v41, v45
	s_mov_b32 vcc_lo, s0
	v_div_scale_f32 v52, null, v169, v169, v33
	s_delay_alu instid0(VALU_DEP_3) | instskip(SKIP_4) | instid1(VALU_DEP_4)
	v_fmac_f32_e32 v43, v46, v43
	v_div_scale_f32 v46, s1, v37, v169, v37
	v_div_fixup_f32 v39, v40, v169, v39
	v_fmac_f32_e32 v41, v49, v51
	v_div_scale_f32 v40, null, v169, v169, v35
	v_mul_f32_e32 v49, v46, v43
	s_delay_alu instid0(VALU_DEP_4) | instskip(NEXT) | instid1(VALU_DEP_4)
	.loc	1 50 30                         ; attention_fwd.py:50:30
	v_cvt_f16_f32_e32 v100, v39
	.loc	1 48 16                         ; attention_fwd.py:48:16
	v_fma_f32 v39, -v44, v41, v45
	s_delay_alu instid0(VALU_DEP_4)
	v_rcp_f32_e32 v44, v40
	.loc	1 49 51                         ; attention_fwd.py:49:51
	v_ashrrev_i32_e32 v57, 31, v56
	.loc	1 48 16                         ; attention_fwd.py:48:16
	v_fma_f32 v45, -v48, v49, v46
	.loc	1 49 51                         ; attention_fwd.py:49:51
	v_ashrrev_i32_e32 v82, 31, v81
	.loc	1 48 16                         ; attention_fwd.py:48:16
	v_div_fmas_f32 v39, v39, v51, v41
	v_div_scale_f32 v51, null, v169, v169, v34
	s_delay_alu instid0(VALU_DEP_4) | instskip(SKIP_1) | instid1(VALU_DEP_3)
	v_fmac_f32_e32 v49, v45, v43
	s_mov_b32 vcc_lo, s1
	v_div_fixup_f32 v38, v39, v169, v38
	s_delay_alu instid0(TRANS32_DEP_1) | instskip(SKIP_3) | instid1(VALU_DEP_4)
	v_fma_f32 v45, -v40, v44, 1.0
	v_fmac_f32_e32 v47, v50, v47
	v_div_scale_f32 v50, s2, v36, v169, v36
	v_fma_f32 v39, -v48, v49, v46
	v_fmac_f32_e32 v44, v45, v44
	v_rcp_f32_e32 v45, v51
	s_delay_alu instid0(VALU_DEP_3) | instskip(SKIP_3) | instid1(VALU_DEP_3)
	v_mul_f32_e32 v41, v50, v47
	v_div_scale_f32 v48, s0, v35, v169, v35
	v_div_fmas_f32 v39, v39, v43, v49
	v_rcp_f32_e32 v43, v52
	v_fma_f32 v46, -v42, v41, v50
	.loc	1 50 30                         ; attention_fwd.py:50:30
	v_cvt_f16_f32_e32 v105, v38
	.loc	1 48 16                         ; attention_fwd.py:48:16
	s_mov_b32 vcc_lo, s2
	v_div_fixup_f32 v37, v39, v169, v37
	s_delay_alu instid0(TRANS32_DEP_2) | instskip(SKIP_2) | instid1(VALU_DEP_4)
	v_fma_f32 v49, -v51, v45, 1.0
	v_dual_fmac_f32 v41, v46, v47 :: v_dual_mul_f32 v46, v48, v44
	.loc	1 49 51                         ; attention_fwd.py:49:51
	v_lshlrev_b64 v[56:57], 1, v[56:57]
	.loc	1 50 30                         ; attention_fwd.py:50:30
	v_cvt_f16_f32_e32 v108, v37
	s_delay_alu instid0(VALU_DEP_4) | instskip(NEXT) | instid1(VALU_DEP_4)
	.loc	1 48 16                         ; attention_fwd.py:48:16
	v_fmac_f32_e32 v45, v49, v45
	v_fma_f32 v38, -v42, v41, v50
	v_fma_f32 v39, -v40, v46, v48
	v_div_scale_f32 v42, s1, v34, v169, v34
	v_fma_f32 v49, -v52, v43, 1.0
	v_div_scale_f32 v50, null, v169, v169, v32
	v_div_fmas_f32 v38, v38, v47, v41
	s_delay_alu instid0(VALU_DEP_4) | instskip(NEXT) | instid1(VALU_DEP_3)
	v_dual_fmac_f32 v46, v39, v44 :: v_dual_mul_f32 v41, v42, v45
	v_rcp_f32_e32 v39, v50
	v_fmac_f32_e32 v43, v49, v43
	v_div_scale_f32 v47, s2, v33, v169, v33
	v_div_fixup_f32 v36, v38, v169, v36
	v_fma_f32 v37, -v40, v46, v48
	v_fma_f32 v38, -v51, v41, v42
	s_delay_alu instid0(VALU_DEP_4) | instskip(SKIP_2) | instid1(TRANS32_DEP_1)
	v_mul_f32_e32 v40, v47, v43
	s_mov_b32 vcc_lo, s0
	.loc	1 50 30                         ; attention_fwd.py:50:30
	v_cvt_f16_f32_e32 v109, v36
	.loc	1 48 16                         ; attention_fwd.py:48:16
	v_fma_f32 v48, -v50, v39, 1.0
	v_div_fmas_f32 v37, v37, v44, v46
	v_fmac_f32_e32 v41, v38, v45
	v_fma_f32 v38, -v52, v40, v47
	v_div_scale_f32 v44, s0, v32, v169, v32
	v_fmac_f32_e32 v39, v48, v39
	v_div_fixup_f32 v35, v37, v169, v35
	v_fma_f32 v36, -v51, v41, v42
	v_fmac_f32_e32 v40, v38, v43
	v_div_scale_f32 v38, null, v169, v169, v31
	s_mov_b32 vcc_lo, s1
	v_mul_f32_e32 v37, v44, v39
	v_div_fmas_f32 v36, v36, v45, v41
	.loc	1 50 30                         ; attention_fwd.py:50:30
	v_cvt_f16_f32_e32 v111, v35
	.loc	1 48 16                         ; attention_fwd.py:48:16
	v_rcp_f32_e32 v35, v38
	v_fma_f32 v41, -v52, v40, v47
	s_mov_b32 vcc_lo, s2
	v_fma_f32 v42, -v50, v37, v44
	v_div_fixup_f32 v34, v36, v169, v34
	.loc	1 49 69                         ; attention_fwd.py:49:69
	v_mul_lo_u32 v52, s65, v90
	.loc	1 48 16                         ; attention_fwd.py:48:16
	v_div_fmas_f32 v36, v41, v43, v40
	v_div_scale_f32 v40, null, v169, v169, v30
	v_fmac_f32_e32 v37, v42, v39
	s_delay_alu instid0(TRANS32_DEP_1) | instskip(NEXT) | instid1(VALU_DEP_4)
	v_fma_f32 v41, -v38, v35, 1.0
	v_div_fixup_f32 v33, v36, v169, v33
	s_delay_alu instid0(VALU_DEP_4)
	v_rcp_f32_e32 v36, v40
	.loc	1 50 30                         ; attention_fwd.py:50:30
	v_cvt_f16_f32_e64 v130, v34
	.loc	1 48 16                         ; attention_fwd.py:48:16
	v_fma_f32 v34, -v50, v37, v44
	v_fmac_f32_e32 v35, v41, v35
	v_div_scale_f32 v41, s1, v31, v169, v31
	v_div_scale_f32 v42, null, v169, v169, v29
	s_mov_b32 vcc_lo, s0
	.loc	1 50 30                         ; attention_fwd.py:50:30
	v_cvt_f16_f32_e64 v133, v33
	.loc	1 48 16                         ; attention_fwd.py:48:16
	v_div_fmas_f32 v34, v34, v39, v37
	v_mul_f32_e32 v37, v41, v35
	v_fma_f32 v39, -v40, v36, 1.0
	v_rcp_f32_e32 v43, v42
	s_mov_b32 vcc_lo, s1
	v_div_fixup_f32 v32, v34, v169, v32
	v_fma_f32 v33, -v38, v37, v41
	v_fmac_f32_e32 v36, v39, v36
	v_div_scale_f32 v39, null, v169, v169, v28
	v_div_scale_f32 v34, s0, v30, v169, v30
	s_delay_alu instid0(VALU_DEP_4) | instskip(NEXT) | instid1(TRANS32_DEP_1)
	v_fmac_f32_e32 v37, v33, v35
	v_fma_f32 v33, -v42, v43, 1.0
	s_delay_alu instid0(VALU_DEP_4)
	v_rcp_f32_e32 v44, v39
	.loc	1 50 30                         ; attention_fwd.py:50:30
	v_cvt_f16_f32_e64 v135, v32
	.loc	1 48 16                         ; attention_fwd.py:48:16
	v_mul_f32_e32 v32, v34, v36
	v_fma_f32 v38, -v38, v37, v41
	v_fmac_f32_e32 v43, v33, v43
	v_div_scale_f32 v33, s2, v29, v169, v29
	s_delay_alu instid0(VALU_DEP_4) | instskip(NEXT) | instid1(VALU_DEP_4)
	v_fma_f32 v41, -v40, v32, v34
	v_div_fmas_f32 v35, v38, v35, v37
	s_mov_b32 vcc_lo, s0
	s_delay_alu instid0(VALU_DEP_3) | instskip(SKIP_3) | instid1(VALU_DEP_4)
	v_mul_f32_e32 v37, v33, v43
	v_fma_f32 v38, -v39, v44, 1.0
	v_fmac_f32_e32 v32, v41, v36
	v_div_scale_f32 v41, null, v169, v169, v27
	v_fma_f32 v45, -v42, v37, v33
	s_delay_alu instid0(VALU_DEP_4) | instskip(SKIP_1) | instid1(VALU_DEP_4)
	v_fmac_f32_e32 v44, v38, v44
	v_div_scale_f32 v38, s1, v28, v169, v28
	v_rcp_f32_e32 v46, v41
	v_div_fixup_f32 v31, v35, v169, v31
	v_fma_f32 v34, -v40, v32, v34
	v_fmac_f32_e32 v37, v45, v43
	v_mul_f32_e32 v35, v38, v44
	v_div_scale_f32 v40, null, v169, v169, v26
	s_delay_alu instid0(VALU_DEP_4) | instskip(NEXT) | instid1(VALU_DEP_4)
	v_div_fmas_f32 v32, v34, v36, v32
	v_fma_f32 v33, -v42, v37, v33
	s_delay_alu instid0(VALU_DEP_4)
	v_fma_f32 v34, -v39, v35, v38
	s_mov_b32 vcc_lo, s2
	v_fma_f32 v36, -v41, v46, 1.0
	.loc	1 50 30                         ; attention_fwd.py:50:30
	v_cvt_f16_f32_e64 v139, v31
	.loc	1 48 16                         ; attention_fwd.py:48:16
	v_div_fmas_f32 v33, v33, v43, v37
	v_fmac_f32_e32 v35, v34, v44
	v_rcp_f32_e32 v34, v40
	v_fmac_f32_e32 v46, v36, v46
	v_div_scale_f32 v36, s0, v27, v169, v27
	v_div_fixup_f32 v29, v33, v169, v29
	v_fma_f32 v31, -v39, v35, v38
	v_div_scale_f32 v33, null, v169, v169, v25
	s_mov_b32 vcc_lo, s1
	v_div_fixup_f32 v30, v32, v169, v30
	v_mul_f32_e32 v32, v36, v46
	s_delay_alu instid0(TRANS32_DEP_1)
	v_fma_f32 v37, -v40, v34, 1.0
	v_div_fmas_f32 v31, v31, v44, v35
	v_rcp_f32_e32 v35, v33
	.loc	1 50 30                         ; attention_fwd.py:50:30
	v_cvt_f16_f32_e64 v141, v30
	.loc	1 48 16                         ; attention_fwd.py:48:16
	v_fma_f32 v38, -v41, v32, v36
	v_fmac_f32_e32 v34, v37, v34
	v_div_scale_f32 v37, s1, v26, v169, v26
	.loc	1 50 30                         ; attention_fwd.py:50:30
	v_cvt_f16_f32_e64 v142, v29
	.loc	1 48 16                         ; attention_fwd.py:48:16
	v_div_fixup_f32 v28, v31, v169, v28
	v_fmac_f32_e32 v32, v38, v46
	s_delay_alu instid0(VALU_DEP_4) | instskip(NEXT) | instid1(TRANS32_DEP_1)
	v_mul_f32_e32 v29, v37, v34
	v_fma_f32 v30, -v33, v35, 1.0
	v_div_scale_f32 v31, null, v169, v169, v24
	.loc	1 50 30                         ; attention_fwd.py:50:30
	v_cvt_f16_f32_e64 v144, v28
	.loc	1 48 16                         ; attention_fwd.py:48:16
	v_fma_f32 v28, -v41, v32, v36
	v_fma_f32 v36, -v40, v29, v37
	v_fmac_f32_e32 v35, v30, v35
	v_rcp_f32_e32 v30, v31
	s_mov_b32 vcc_lo, s0
	v_div_scale_f32 v38, s2, v25, v169, v25
	v_div_fmas_f32 v28, v28, v46, v32
	v_fmac_f32_e32 v29, v36, v34
	v_div_scale_f32 v32, null, v169, v169, v23
	s_delay_alu instid0(VALU_DEP_4) | instskip(NEXT) | instid1(VALU_DEP_4)
	v_mul_f32_e32 v36, v38, v35
	v_div_fixup_f32 v27, v28, v169, v27
	s_delay_alu instid0(TRANS32_DEP_1)
	v_fma_f32 v39, -v31, v30, 1.0
	v_fma_f32 v28, -v40, v29, v37
	v_rcp_f32_e32 v37, v32
	v_fma_f32 v40, -v33, v36, v38
	s_mov_b32 vcc_lo, s1
	v_fmac_f32_e32 v30, v39, v30
	v_div_scale_f32 v39, s0, v24, v169, v24
	v_div_fmas_f32 v28, v28, v34, v29
	v_fmac_f32_e32 v36, v40, v35
	.loc	1 50 30                         ; attention_fwd.py:50:30
	v_cvt_f16_f32_e64 v146, v27
	s_delay_alu instid0(VALU_DEP_4) | instskip(NEXT) | instid1(TRANS32_DEP_1)
	.loc	1 48 16                         ; attention_fwd.py:48:16
	v_mul_f32_e32 v29, v39, v30
	v_fma_f32 v34, -v32, v37, 1.0
	v_div_fixup_f32 v26, v28, v169, v26
	v_fma_f32 v27, -v33, v36, v38
	v_div_scale_f32 v33, s1, v23, v169, v23
	v_fma_f32 v28, -v31, v29, v39
	v_fmac_f32_e32 v37, v34, v37
	v_div_scale_f32 v34, null, v169, v169, v22
	s_mov_b32 vcc_lo, s2
	v_fmac_f32_e32 v29, v28, v30
	v_div_fmas_f32 v27, v27, v35, v36
	v_mul_f32_e32 v28, v33, v37
	v_rcp_f32_e32 v35, v34
	.loc	1 50 30                         ; attention_fwd.py:50:30
	v_cvt_f16_f32_e64 v147, v26
	.loc	1 48 16                         ; attention_fwd.py:48:16
	v_fma_f32 v26, -v31, v29, v39
	v_div_fixup_f32 v25, v27, v169, v25
	v_fma_f32 v27, -v32, v28, v33
	v_div_scale_f32 v31, null, v169, v169, v21
	s_mov_b32 vcc_lo, s0
	.loc	1 50 30                         ; attention_fwd.py:50:30
	v_cvt_f16_f32_e64 v148, v25
	.loc	1 48 16                         ; attention_fwd.py:48:16
	v_div_fmas_f32 v26, v26, v30, v29
	s_delay_alu instid0(TRANS32_DEP_1) | instskip(SKIP_3) | instid1(VALU_DEP_3)
	v_fma_f32 v29, -v34, v35, 1.0
	v_fmac_f32_e32 v28, v27, v37
	v_rcp_f32_e32 v27, v31
	v_div_scale_f32 v30, null, v169, v169, v20
	v_fmac_f32_e32 v35, v29, v35
	v_div_scale_f32 v29, s0, v22, v169, v22
	s_delay_alu instid0(VALU_DEP_3) | instskip(SKIP_2) | instid1(VALU_DEP_3)
	v_rcp_f32_e32 v25, v30
	v_div_fixup_f32 v24, v26, v169, v24
	v_fma_f32 v26, -v32, v28, v33
	v_mul_f32_e32 v32, v29, v35
	s_delay_alu instid0(TRANS32_DEP_2)
	v_fma_f32 v33, -v31, v27, 1.0
	s_mov_b32 vcc_lo, s1
	.loc	1 50 30                         ; attention_fwd.py:50:30
	v_cvt_f16_f32_e64 v149, v24
	.loc	1 48 16                         ; attention_fwd.py:48:16
	v_div_fmas_f32 v26, v26, v37, v28
	v_fma_f32 v28, -v34, v32, v29
	v_fmac_f32_e32 v27, v33, v27
	v_fma_f32 v33, -v30, v25, 1.0
	v_div_scale_f32 v37, s1, v21, v169, v21
	v_div_fixup_f32 v23, v26, v169, v23
	s_delay_alu instid0(VALU_DEP_3) | instskip(NEXT) | instid1(VALU_DEP_3)
	v_dual_fmac_f32 v32, v28, v35 :: v_dual_fmac_f32 v25, v33, v25
	v_mul_f32_e32 v26, v37, v27
	s_mov_b32 vcc_lo, s0
	s_delay_alu instid0(VALU_DEP_3) | instskip(NEXT) | instid1(VALU_DEP_3)
	.loc	1 50 30                         ; attention_fwd.py:50:30
	v_cvt_f16_f32_e64 v150, v23
	.loc	1 48 16                         ; attention_fwd.py:48:16
	v_fma_f32 v23, -v34, v32, v29
	v_div_scale_f32 v33, s2, v20, v169, v20
	v_fma_f32 v24, -v31, v26, v37
	v_div_scale_f32 v36, null, v169, v169, v19
	s_delay_alu instid0(VALU_DEP_4) | instskip(NEXT) | instid1(VALU_DEP_4)
	v_div_fmas_f32 v23, v23, v35, v32
	v_mul_f32_e32 v28, v33, v25
	s_delay_alu instid0(VALU_DEP_4) | instskip(SKIP_1) | instid1(VALU_DEP_4)
	v_fmac_f32_e32 v26, v24, v27
	v_div_scale_f32 v24, null, v169, v169, v18
	v_div_fixup_f32 v22, v23, v169, v22
	v_rcp_f32_e32 v38, v36
	s_delay_alu instid0(VALU_DEP_3) | instskip(NEXT) | instid1(VALU_DEP_3)
	v_fma_f32 v23, -v31, v26, v37
	v_rcp_f32_e32 v31, v24
	v_fma_f32 v29, -v30, v28, v33
	s_mov_b32 vcc_lo, s1
	.loc	1 50 30                         ; attention_fwd.py:50:30
	v_cvt_f16_f32_e64 v151, v22
	.loc	1 48 16                         ; attention_fwd.py:48:16
	v_div_fmas_f32 v23, v23, v27, v26
	s_mov_b32 vcc_lo, s2
	v_div_scale_f32 v22, null, v169, v169, v16
	s_delay_alu instid0(TRANS32_DEP_2) | instskip(NEXT) | instid1(VALU_DEP_3)
	v_fma_f32 v34, -v36, v38, 1.0
	v_div_fixup_f32 v21, v23, v169, v21
	s_delay_alu instid0(TRANS32_DEP_1) | instskip(SKIP_2) | instid1(VALU_DEP_3)
	v_fma_f32 v27, -v24, v31, 1.0
	v_fmac_f32_e32 v28, v29, v25
	v_div_scale_f32 v29, s0, v19, v169, v19
	v_dual_fmac_f32 v38, v34, v38 :: v_dual_fmac_f32 v31, v27, v31
	s_delay_alu instid0(VALU_DEP_3)
	v_fma_f32 v30, -v30, v28, v33
	.loc	1 50 30                         ; attention_fwd.py:50:30
	v_cvt_f16_f32_e64 v152, v21
	.loc	1 48 16                         ; attention_fwd.py:48:16
	v_rcp_f32_e32 v27, v22
	.loc	1 49 69                         ; attention_fwd.py:49:69
	v_mul_lo_u32 v44, s65, v97
	v_mul_lo_u32 v40, s65, v98
	.loc	1 48 16                         ; attention_fwd.py:48:16
	v_div_fmas_f32 v25, v30, v25, v28
	v_div_scale_f32 v28, null, v169, v169, v17
	s_mov_b32 vcc_lo, s0
	.loc	1 49 69                         ; attention_fwd.py:49:69
	v_mul_lo_u32 v46, s65, v93
	.loc	1 48 16                         ; attention_fwd.py:48:16
	v_div_fixup_f32 v20, v25, v169, v20
	v_rcp_f32_e32 v23, v28
	v_mul_f32_e32 v32, v29, v38
	v_div_scale_f32 v25, s1, v18, v169, v18
	s_delay_alu instid0(VALU_DEP_3) | instskip(SKIP_1) | instid1(VALU_DEP_4)
	.loc	1 50 30                         ; attention_fwd.py:50:30
	v_cvt_f16_f32_e64 v153, v20
	.loc	1 48 16                         ; attention_fwd.py:48:16
	v_fma_f32 v30, -v22, v27, 1.0
	v_fma_f32 v26, -v36, v32, v29
	s_delay_alu instid0(VALU_DEP_4)
	v_mul_f32_e32 v21, v25, v31
	.loc	1 49 51                         ; attention_fwd.py:49:51
	v_ashrrev_i32_e32 v45, 31, v44
	v_ashrrev_i32_e32 v41, 31, v40
	.loc	1 48 16                         ; attention_fwd.py:48:16
	v_fmac_f32_e32 v27, v30, v27
	v_fmac_f32_e32 v32, v26, v38
	v_fma_f32 v26, -v28, v23, 1.0
	v_div_scale_f32 v30, s2, v16, v169, v16
	.loc	1 49 51                         ; attention_fwd.py:49:51
	v_ashrrev_i32_e32 v47, 31, v46
	s_delay_alu instid0(VALU_DEP_4) | instskip(SKIP_3) | instid1(VALU_DEP_4)
	.loc	1 48 16                         ; attention_fwd.py:48:16
	v_fma_f32 v20, -v36, v32, v29
	v_fma_f32 v29, -v24, v21, v25
	v_fmac_f32_e32 v23, v26, v23
	v_div_scale_f32 v26, s0, v17, v169, v17
	v_div_fmas_f32 v20, v20, v38, v32
	s_delay_alu instid0(VALU_DEP_4) | instskip(SKIP_2) | instid1(VALU_DEP_3)
	v_fmac_f32_e32 v21, v29, v31
	s_mov_b32 vcc_lo, s1
	v_div_scale_f32 v32, null, v169, v169, v13
	v_div_fixup_f32 v19, v20, v169, v19
	v_div_scale_f32 v20, null, v169, v169, v15
	.loc	1 49 69                         ; attention_fwd.py:49:69
	v_mul_lo_u32 v36, s65, v102
	v_mul_lo_u32 v38, s65, v101
	s_delay_alu instid0(VALU_DEP_4)
	.loc	1 50 30                         ; attention_fwd.py:50:30
	v_cvt_f16_f32_e64 v154, v19
	.loc	1 48 16                         ; attention_fwd.py:48:16
	v_fma_f32 v19, -v24, v21, v25
	v_rcp_f32_e32 v24, v20
	v_mul_f32_e32 v29, v26, v23
	.loc	1 49 51                         ; attention_fwd.py:49:51
	v_lshlrev_b64 v[40:41], 1, v[40:41]
	v_lshlrev_b64 v[46:47], 1, v[46:47]
	.loc	1 48 16                         ; attention_fwd.py:48:16
	v_div_fmas_f32 v19, v19, v31, v21
	v_div_scale_f32 v31, null, v169, v169, v14
	v_fma_f32 v25, -v28, v29, v26
	v_mul_f32_e32 v21, v30, v27
	s_delay_alu instid0(VALU_DEP_4)
	v_div_fixup_f32 v18, v19, v169, v18
	s_mov_b32 vcc_lo, s0
	.loc	1 49 51                         ; attention_fwd.py:49:51
	v_ashrrev_i32_e32 v37, 31, v36
	.loc	1 48 16                         ; attention_fwd.py:48:16
	v_fmac_f32_e32 v29, v25, v23
	v_fma_f32 v25, -v20, v24, 1.0
	.loc	1 50 30                         ; attention_fwd.py:50:30
	v_cvt_f16_f32_e64 v155, v18
	.loc	1 49 51                         ; attention_fwd.py:49:51
	v_ashrrev_i32_e32 v39, 31, v38
	.loc	1 49 69 is_stmt 0               ; attention_fwd.py:49:69
	v_mul_lo_u32 v48, s65, v91
	.loc	1 48 16 is_stmt 1               ; attention_fwd.py:48:16
	v_fma_f32 v19, -v28, v29, v26
	v_fmac_f32_e32 v24, v25, v24
	v_rcp_f32_e32 v25, v31
	v_fma_f32 v26, -v22, v21, v30
	v_div_scale_f32 v28, s1, v15, v169, v15
	v_div_fmas_f32 v19, v19, v23, v29
	v_rcp_f32_e32 v23, v32
	s_delay_alu instid0(VALU_DEP_2) | instskip(SKIP_1) | instid1(VALU_DEP_2)
	v_dual_fmac_f32 v21, v26, v27 :: v_dual_mul_f32 v26, v28, v24
	s_mov_b32 vcc_lo, s2
	v_div_fixup_f32 v17, v19, v169, v17
	s_delay_alu instid0(TRANS32_DEP_2) | instskip(NEXT) | instid1(VALU_DEP_3)
	v_fma_f32 v29, -v31, v25, 1.0
	v_fma_f32 v18, -v22, v21, v30
	v_fma_f32 v19, -v20, v26, v28
	v_div_scale_f32 v22, s0, v14, v169, v14
	s_delay_alu instid0(VALU_DEP_4) | instskip(NEXT) | instid1(TRANS32_DEP_1)
	v_fmac_f32_e32 v25, v29, v25
	v_fma_f32 v29, -v32, v23, 1.0
	v_div_fmas_f32 v18, v18, v27, v21
	v_fmac_f32_e32 v26, v19, v24
	v_div_scale_f32 v21, s2, v13, v169, v13
	s_delay_alu instid0(VALU_DEP_4)
	v_fmac_f32_e32 v23, v29, v23
	v_mul_f32_e32 v19, v22, v25
	v_div_scale_f32 v27, null, v169, v169, v12
	v_div_fixup_f32 v16, v18, v169, v16
	v_fma_f32 v18, -v20, v26, v28
	v_mul_f32_e32 v28, v21, v23
	v_fma_f32 v20, -v31, v19, v22
	v_rcp_f32_e32 v29, v27
	s_mov_b32 vcc_lo, s1
	.loc	1 50 30                         ; attention_fwd.py:50:30
	v_cvt_f16_f32_e64 v156, v17
	.loc	1 48 16                         ; attention_fwd.py:48:16
	v_div_fmas_f32 v18, v18, v24, v26
	v_fmac_f32_e32 v19, v20, v25
	v_fma_f32 v20, -v32, v28, v21
	.loc	1 50 30                         ; attention_fwd.py:50:30
	v_cvt_f16_f32_e64 v157, v16
	.loc	1 48 16                         ; attention_fwd.py:48:16
	s_mov_b32 vcc_lo, s0
	v_div_fixup_f32 v15, v18, v169, v15
	v_fma_f32 v16, -v31, v19, v22
	v_fma_f32 v17, -v27, v29, 1.0
	v_fmac_f32_e32 v28, v20, v23
	v_div_scale_f32 v18, null, v169, v169, v11
	s_delay_alu instid0(VALU_DEP_4) | instskip(NEXT) | instid1(VALU_DEP_4)
	v_div_fmas_f32 v16, v16, v25, v19
	v_fmac_f32_e32 v29, v17, v29
	s_delay_alu instid0(VALU_DEP_4) | instskip(NEXT) | instid1(VALU_DEP_4)
	v_fma_f32 v19, -v32, v28, v21
	v_rcp_f32_e32 v20, v18
	v_div_scale_f32 v17, s0, v12, v169, v12
	s_mov_b32 vcc_lo, s2
	.loc	1 50 30                         ; attention_fwd.py:50:30
	v_cvt_f16_f32_e64 v158, v15
	.loc	1 48 16                         ; attention_fwd.py:48:16
	v_div_fmas_f32 v19, v19, v23, v28
	v_mul_f32_e32 v15, v17, v29
	v_div_fixup_f32 v14, v16, v169, v14
	s_mov_b32 vcc_lo, s0
	.loc	1 49 69                         ; attention_fwd.py:49:69
	v_mul_lo_u32 v28, s65, v107
	s_delay_alu instid0(TRANS32_DEP_1) | instskip(SKIP_3) | instid1(VALU_DEP_4)
	.loc	1 48 16                         ; attention_fwd.py:48:16
	v_fma_f32 v16, -v18, v20, 1.0
	v_div_fixup_f32 v13, v19, v169, v13
	v_div_scale_f32 v19, null, v169, v169, v10
	v_fma_f32 v21, -v27, v15, v17
	v_fmac_f32_e32 v20, v16, v20
	v_div_scale_f32 v16, s1, v11, v169, v11
	s_delay_alu instid0(VALU_DEP_4) | instskip(NEXT) | instid1(VALU_DEP_3)
	v_rcp_f32_e32 v22, v19
	v_fmac_f32_e32 v15, v21, v29
	v_div_scale_f32 v21, null, v169, v169, v9
	s_delay_alu instid0(VALU_DEP_3) | instskip(SKIP_2) | instid1(VALU_DEP_4)
	v_mul_f32_e32 v23, v16, v20
	.loc	1 50 30                         ; attention_fwd.py:50:30
	v_cvt_f16_f32_e64 v159, v14
	v_cvt_f16_f32_e64 v160, v13
	.loc	1 48 16                         ; attention_fwd.py:48:16
	v_rcp_f32_e32 v14, v21
	v_fma_f32 v13, -v27, v15, v17
	v_fma_f32 v17, -v18, v23, v16
	s_delay_alu instid0(TRANS32_DEP_2) | instskip(SKIP_3) | instid1(VALU_DEP_4)
	v_fma_f32 v24, -v19, v22, 1.0
	.loc	1 49 69                         ; attention_fwd.py:49:69
	v_mul_lo_u32 v30, s65, v106
	v_mul_lo_u32 v32, s65, v103
	.loc	1 48 16                         ; attention_fwd.py:48:16
	v_div_fmas_f32 v13, v13, v29, v15
	v_dual_fmac_f32 v23, v17, v20 :: v_dual_fmac_f32 v22, v24, v22
	v_div_scale_f32 v24, null, v169, v169, v8
	s_delay_alu instid0(TRANS32_DEP_1) | instskip(SKIP_3) | instid1(VALU_DEP_4)
	v_fma_f32 v17, -v21, v14, 1.0
	v_div_scale_f32 v15, s0, v10, v169, v10
	v_div_fixup_f32 v12, v13, v169, v12
	v_fma_f32 v13, -v18, v23, v16
	v_fmac_f32_e32 v14, v17, v14
	v_rcp_f32_e32 v17, v24
	v_mul_f32_e32 v16, v15, v22
	v_div_scale_f32 v18, s2, v9, v169, v9
	s_mov_b32 vcc_lo, s1
	.loc	1 50 30                         ; attention_fwd.py:50:30
	v_cvt_f16_f32_e64 v161, v12
	.loc	1 48 16                         ; attention_fwd.py:48:16
	v_div_fmas_f32 v13, v13, v20, v23
	v_div_scale_f32 v23, null, v169, v169, v7
	v_fma_f32 v20, -v19, v16, v15
	v_mul_f32_e32 v25, v18, v14
	s_delay_alu instid0(TRANS32_DEP_1)
	v_fma_f32 v26, -v24, v17, 1.0
	v_div_fixup_f32 v11, v13, v169, v11
	v_rcp_f32_e32 v13, v23
	v_fmac_f32_e32 v16, v20, v22
	v_fma_f32 v20, -v21, v25, v18
	v_fmac_f32_e32 v17, v26, v17
	v_div_scale_f32 v26, s1, v8, v169, v8
	.loc	1 50 30                         ; attention_fwd.py:50:30
	v_cvt_f16_f32_e64 v163, v11
	.loc	1 48 16                         ; attention_fwd.py:48:16
	v_fma_f32 v11, -v19, v16, v15
	s_delay_alu instid0(VALU_DEP_3) | instskip(NEXT) | instid1(TRANS32_DEP_1)
	v_dual_fmac_f32 v25, v20, v14 :: v_dual_mul_f32 v12, v26, v17
	v_fma_f32 v15, -v23, v13, 1.0
	s_mov_b32 vcc_lo, s0
	.loc	1 49 51                         ; attention_fwd.py:49:51
	v_ashrrev_i32_e32 v29, 31, v28
	.loc	1 48 16                         ; attention_fwd.py:48:16
	v_div_fmas_f32 v11, v11, v22, v16
	v_fma_f32 v16, -v21, v25, v18
	v_fma_f32 v18, -v24, v12, v26
	v_fmac_f32_e32 v13, v15, v13
	v_div_scale_f32 v15, s0, v7, v169, v7
	s_mov_b32 vcc_lo, s2
	v_fmac_f32_e32 v12, v18, v17
	v_div_fmas_f32 v14, v16, v14, v25
	v_mul_f32_e32 v16, v15, v13
	v_div_scale_f32 v18, null, v169, v169, v6
	v_div_fixup_f32 v10, v11, v169, v10
	v_fma_f32 v11, -v24, v12, v26
	v_div_fixup_f32 v9, v14, v169, v9
	v_fma_f32 v14, -v23, v16, v15
	s_mov_b32 vcc_lo, s1
	v_rcp_f32_e32 v19, v18
	v_div_fmas_f32 v11, v11, v17, v12
	v_div_scale_f32 v12, null, v169, v169, v5
	v_fmac_f32_e32 v16, v14, v13
	.loc	1 50 30                         ; attention_fwd.py:50:30
	v_cvt_f16_f32_e64 v170, v9
	v_cvt_f16_f32_e64 v164, v10
	s_delay_alu instid0(VALU_DEP_4) | instskip(SKIP_2) | instid1(TRANS32_DEP_2)
	.loc	1 48 16                         ; attention_fwd.py:48:16
	v_rcp_f32_e32 v9, v12
	v_div_fixup_f32 v8, v11, v169, v8
	v_fma_f32 v10, -v23, v16, v15
	v_fma_f32 v11, -v18, v19, 1.0
	s_mov_b32 vcc_lo, s0
	v_div_scale_f32 v14, null, v169, v169, v3
	.loc	1 50 30                         ; attention_fwd.py:50:30
	v_cvt_f16_f32_e64 v177, v8
	.loc	1 48 16                         ; attention_fwd.py:48:16
	v_div_fmas_f32 v8, v10, v13, v16
	v_div_scale_f32 v13, null, v169, v169, v4
	v_fmac_f32_e32 v19, v11, v19
	v_div_scale_f32 v10, vcc_lo, v6, v169, v6
	v_fma_f32 v11, -v12, v9, 1.0
	s_delay_alu instid0(VALU_DEP_4) | instskip(SKIP_1) | instid1(VALU_DEP_3)
	v_rcp_f32_e32 v15, v13
	v_div_fixup_f32 v7, v8, v169, v7
	v_mul_f32_e32 v8, v10, v19
	v_div_scale_f32 v17, null, v169, v169, v2
	v_fmac_f32_e32 v9, v11, v9
	v_rcp_f32_e32 v11, v14
	v_div_scale_f32 v16, s0, v5, v169, v5
	v_fma_f32 v20, -v18, v8, v10
	v_rcp_f32_e32 v22, v17
	.loc	1 50 30                         ; attention_fwd.py:50:30
	v_cvt_f16_f32_e64 v178, v7
	s_delay_alu instid0(VALU_DEP_3) | instskip(SKIP_3) | instid1(TRANS32_DEP_2)
	.loc	1 48 16                         ; attention_fwd.py:48:16
	v_mul_f32_e32 v7, v16, v9
	v_fma_f32 v21, -v13, v15, 1.0
	v_fmac_f32_e32 v8, v20, v19
	.loc	1 49 51                         ; attention_fwd.py:49:51
	v_ashrrev_i32_e32 v31, 31, v30
	.loc	1 48 16                         ; attention_fwd.py:48:16
	v_fma_f32 v20, -v14, v11, 1.0
	v_fma_f32 v23, -v12, v7, v16
	v_fmac_f32_e32 v15, v21, v15
	v_div_scale_f32 v21, s1, v4, v169, v4
	s_delay_alu instid0(VALU_DEP_4) | instskip(SKIP_4) | instid1(VALU_DEP_4)
	v_fmac_f32_e32 v11, v20, v11
	v_div_scale_f32 v20, s2, v3, v169, v3
	v_fma_f32 v24, -v17, v22, 1.0
	v_fma_f32 v10, -v18, v8, v10
	v_dual_fmac_f32 v7, v23, v9 :: v_dual_mul_f32 v18, v21, v15
	v_mul_f32_e32 v23, v20, v11
	s_delay_alu instid0(VALU_DEP_4)
	v_fmac_f32_e32 v22, v24, v22
	v_div_scale_f32 v24, s3, v2, v169, v2
	v_div_fmas_f32 v8, v10, v19, v8
	v_fma_f32 v10, -v12, v7, v16
	v_fma_f32 v12, -v13, v18, v21
	;; [unrolled: 1-line block ×3, first 2 shown]
	v_mul_f32_e32 v19, v24, v22
	s_mov_b32 vcc_lo, s0
	v_div_fixup_f32 v6, v8, v169, v6
	v_div_fmas_f32 v7, v10, v9, v7
	v_fmac_f32_e32 v18, v12, v15
	v_fma_f32 v9, -v17, v19, v24
	v_fmac_f32_e32 v23, v16, v11
	s_mov_b32 vcc_lo, s1
	v_div_fixup_f32 v8, v7, v169, v5
	v_fma_f32 v5, -v13, v18, v21
	v_fmac_f32_e32 v19, v9, v22
	v_fma_f32 v7, -v14, v23, v20
	.loc	1 49 69                         ; attention_fwd.py:49:69
	v_mul_lo_u32 v12, s65, v137
	v_mul_lo_u32 v14, s65, v136
	.loc	1 48 16                         ; attention_fwd.py:48:16
	v_div_fmas_f32 v9, v5, v15, v18
	.loc	1 49 69                         ; attention_fwd.py:49:69
	v_mul_lo_u32 v5, s65, v145
	.loc	1 48 16                         ; attention_fwd.py:48:16
	s_mov_b32 vcc_lo, s2
	v_fma_f32 v10, -v17, v19, v24
	v_div_fmas_f32 v11, v7, v11, v23
	.loc	1 49 69                         ; attention_fwd.py:49:69
	v_mul_lo_u32 v7, s65, v143
	.loc	1 48 16                         ; attention_fwd.py:48:16
	v_div_fixup_f32 v9, v9, v169, v4
	.loc	1 49 69                         ; attention_fwd.py:49:69
	v_mul_lo_u32 v4, s65, v140
	.loc	1 48 16                         ; attention_fwd.py:48:16
	s_mov_b32 vcc_lo, s3
	.loc	1 50 30                         ; attention_fwd.py:50:30
	v_cvt_f16_f32_e64 v143, v6
	.loc	1 48 16                         ; attention_fwd.py:48:16
	v_div_fmas_f32 v10, v10, v22, v19
	v_div_fixup_f32 v3, v11, v169, v3
	.loc	1 49 51                         ; attention_fwd.py:49:51
	v_ashrrev_i32_e32 v6, 31, v5
	.loc	1 50 30                         ; attention_fwd.py:50:30
	v_cvt_f16_f32_e64 v145, v8
	.loc	1 49 51                         ; attention_fwd.py:49:51
	v_ashrrev_i32_e32 v8, 31, v7
	.loc	1 48 16                         ; attention_fwd.py:48:16
	v_div_fixup_f32 v10, v10, v169, v2
	.loc	1 50 30                         ; attention_fwd.py:50:30
	v_cvt_f16_f32_e64 v179, v3
	.loc	1 49 51                         ; attention_fwd.py:49:51
	v_lshlrev_b64 v[2:3], 1, v[5:6]
	v_ashrrev_i32_e32 v5, 31, v4
	v_lshlrev_b64 v[6:7], 1, v[7:8]
	.loc	1 50 30                         ; attention_fwd.py:50:30
	v_cvt_f16_f32_e64 v180, v10
	.loc	1 49 69                         ; attention_fwd.py:49:69
	v_mul_lo_u32 v8, s65, v138
	.loc	1 49 51 is_stmt 0               ; attention_fwd.py:49:51
	v_ashrrev_i32_e32 v13, 31, v12
	v_lshlrev_b64 v[10:11], 1, v[4:5]
	v_add_co_u32 v2, vcc_lo, v64, v2
	s_delay_alu instid0(VALU_DEP_1) | instskip(SKIP_1) | instid1(VALU_DEP_1)
	v_add_co_ci_u32_e64 v3, null, v65, v3, vcc_lo
	v_add_co_u32 v4, vcc_lo, v64, v6
	v_add_co_ci_u32_e64 v5, null, v65, v7, vcc_lo
	v_add_co_u32 v6, vcc_lo, v64, v10
	s_delay_alu instid0(VALU_DEP_1)
	v_add_co_ci_u32_e64 v7, null, v65, v11, vcc_lo
	v_lshlrev_b64 v[10:11], 1, v[12:13]
	.loc	1 49 69                         ; attention_fwd.py:49:69
	v_mul_lo_u32 v12, s65, v134
	.loc	1 50 30 is_stmt 1               ; attention_fwd.py:50:30
	v_cvt_f16_f32_e64 v140, v9
	.loc	1 49 51                         ; attention_fwd.py:49:51
	v_ashrrev_i32_e32 v9, 31, v8
	v_ashrrev_i32_e32 v15, 31, v14
	.loc	1 49 69 is_stmt 0               ; attention_fwd.py:49:69
	v_mul_lo_u32 v20, s65, v131
	v_mul_lo_u32 v16, s65, v132
	;; [unrolled: 1-line block ×3, first 2 shown]
	.loc	1 49 51                         ; attention_fwd.py:49:51
	v_lshlrev_b64 v[8:9], 1, v[8:9]
	v_ashrrev_i32_e32 v13, 31, v12
	v_lshlrev_b64 v[14:15], 1, v[14:15]
	.loc	1 49 69                         ; attention_fwd.py:49:69
	v_mul_lo_u32 v24, s65, v110
	.loc	1 49 51                         ; attention_fwd.py:49:51
	v_lshlrev_b64 v[30:31], 1, v[30:31]
	v_ashrrev_i32_e32 v21, 31, v20
	v_add_co_u32 v8, vcc_lo, v64, v8
	v_lshlrev_b64 v[18:19], 1, v[12:13]
	v_add_co_ci_u32_e64 v9, null, v65, v9, vcc_lo
	v_add_co_u32 v10, vcc_lo, v64, v10
	s_delay_alu instid0(VALU_DEP_1) | instskip(SKIP_1) | instid1(VALU_DEP_1)
	v_add_co_ci_u32_e64 v11, null, v65, v11, vcc_lo
	v_add_co_u32 v12, vcc_lo, v64, v14
	v_add_co_ci_u32_e64 v13, null, v65, v15, vcc_lo
	v_add_co_u32 v14, vcc_lo, v64, v18
	s_delay_alu instid0(VALU_DEP_1)
	v_add_co_ci_u32_e64 v15, null, v65, v19, vcc_lo
	v_lshlrev_b64 v[18:19], 1, v[20:21]
	.loc	1 49 69                         ; attention_fwd.py:49:69
	v_mul_lo_u32 v20, s65, v128
	.loc	1 49 51                         ; attention_fwd.py:49:51
	v_ashrrev_i32_e32 v17, 31, v16
	v_ashrrev_i32_e32 v23, 31, v22
	;; [unrolled: 1-line block ×4, first 2 shown]
	v_lshlrev_b64 v[38:39], 1, v[38:39]
	v_lshlrev_b64 v[16:17], 1, v[16:17]
	;; [unrolled: 1-line block ×3, first 2 shown]
	v_ashrrev_i32_e32 v21, 31, v20
	v_lshlrev_b64 v[24:25], 1, v[24:25]
	v_lshlrev_b64 v[32:33], 1, v[32:33]
	v_ashrrev_i32_e32 v53, 31, v52
	v_add_co_u32 v16, vcc_lo, v64, v16
	v_lshlrev_b64 v[26:27], 1, v[20:21]
	v_add_co_ci_u32_e64 v17, null, v65, v17, vcc_lo
	v_add_co_u32 v18, vcc_lo, v64, v18
	s_delay_alu instid0(VALU_DEP_1) | instskip(SKIP_1) | instid1(VALU_DEP_1)
	v_add_co_ci_u32_e64 v19, null, v65, v19, vcc_lo
	v_add_co_u32 v20, vcc_lo, v64, v22
	v_add_co_ci_u32_e64 v21, null, v65, v23, vcc_lo
	v_add_co_u32 v22, vcc_lo, v64, v26
	s_delay_alu instid0(VALU_DEP_1) | instskip(SKIP_3) | instid1(VALU_DEP_1)
	v_add_co_ci_u32_e64 v23, null, v65, v27, vcc_lo
	v_lshlrev_b64 v[26:27], 1, v[28:29]
	.loc	1 49 69                         ; attention_fwd.py:49:69
	v_mul_lo_u32 v28, s65, v104
	.loc	1 49 51                         ; attention_fwd.py:49:51
	v_add_co_u32 v24, vcc_lo, v64, v24
	v_add_co_ci_u32_e64 v25, null, v65, v25, vcc_lo
	s_delay_alu instid0(VALU_DEP_4) | instskip(NEXT) | instid1(VALU_DEP_1)
	v_add_co_u32 v26, vcc_lo, v64, v26
	v_add_co_ci_u32_e64 v27, null, v65, v27, vcc_lo
	v_ashrrev_i32_e32 v29, 31, v28
	v_ashrrev_i32_e32 v49, 31, v48
	.loc	1 49 69                         ; attention_fwd.py:49:69
	v_mul_lo_u32 v97, s65, v175
	v_mul_lo_u32 v101, s65, v174
	.loc	1 49 51                         ; attention_fwd.py:49:51
	v_lshlrev_b64 v[81:82], 1, v[81:82]
	v_lshlrev_b64 v[34:35], 1, v[28:29]
	v_add_co_u32 v28, vcc_lo, v64, v30
	s_delay_alu instid0(VALU_DEP_1) | instskip(SKIP_1) | instid1(VALU_DEP_4)
	v_add_co_ci_u32_e64 v29, null, v65, v31, vcc_lo
	v_lshlrev_b64 v[48:49], 1, v[48:49]
	v_add_co_u32 v30, vcc_lo, v64, v34
	s_delay_alu instid0(VALU_DEP_1) | instskip(SKIP_3) | instid1(VALU_DEP_1)
	v_add_co_ci_u32_e64 v31, null, v65, v35, vcc_lo
	v_lshlrev_b64 v[34:35], 1, v[36:37]
	.loc	1 49 69                         ; attention_fwd.py:49:69
	v_mul_lo_u32 v36, s65, v99
	.loc	1 49 51                         ; attention_fwd.py:49:51
	v_add_co_u32 v32, vcc_lo, v64, v32
	v_add_co_ci_u32_e64 v33, null, v65, v33, vcc_lo
	s_delay_alu instid0(VALU_DEP_4) | instskip(NEXT) | instid1(VALU_DEP_1)
	v_add_co_u32 v34, vcc_lo, v64, v34
	v_add_co_ci_u32_e64 v35, null, v65, v35, vcc_lo
	v_ashrrev_i32_e32 v37, 31, v36
	.loc	1 49 69                         ; attention_fwd.py:49:69
	v_mul_lo_u32 v103, s65, v173
	v_mul_lo_u32 v106, s65, v172
	.loc	1 49 51                         ; attention_fwd.py:49:51
	v_ashrrev_i32_e32 v98, 31, v97
	.loc	1 49 69                         ; attention_fwd.py:49:69
	v_mul_lo_u32 v128, s65, v171
	.loc	1 49 51                         ; attention_fwd.py:49:51
	v_lshlrev_b64 v[42:43], 1, v[36:37]
	v_add_co_u32 v36, vcc_lo, v64, v38
	s_delay_alu instid0(VALU_DEP_1) | instskip(SKIP_1) | instid1(VALU_DEP_4)
	v_add_co_ci_u32_e64 v37, null, v65, v39, vcc_lo
	.loc	1 49 69                         ; attention_fwd.py:49:69
	v_mul_lo_u32 v173, s65, v127
	.loc	1 49 51                         ; attention_fwd.py:49:51
	v_add_co_u32 v38, vcc_lo, v64, v42
	s_delay_alu instid0(VALU_DEP_1) | instskip(SKIP_3) | instid1(VALU_DEP_1)
	v_add_co_ci_u32_e64 v39, null, v65, v43, vcc_lo
	v_lshlrev_b64 v[42:43], 1, v[44:45]
	.loc	1 49 69                         ; attention_fwd.py:49:69
	v_mul_lo_u32 v44, s65, v92
	.loc	1 49 51                         ; attention_fwd.py:49:51
	v_add_co_u32 v40, vcc_lo, v64, v40
	v_add_co_ci_u32_e64 v41, null, v65, v41, vcc_lo
	s_delay_alu instid0(VALU_DEP_4) | instskip(NEXT) | instid1(VALU_DEP_1)
	v_add_co_u32 v42, vcc_lo, v64, v42
	v_add_co_ci_u32_e64 v43, null, v65, v43, vcc_lo
	v_ashrrev_i32_e32 v45, 31, v44
	.loc	1 49 69                         ; attention_fwd.py:49:69
	v_mul_lo_u32 v92, s65, v176
	.loc	1 49 51                         ; attention_fwd.py:49:51
	v_ashrrev_i32_e32 v127, 31, v126
	v_ashrrev_i32_e32 v102, 31, v101
	.loc	1 49 69                         ; attention_fwd.py:49:69
	v_mul_lo_u32 v131, s65, v168
	.loc	1 49 51                         ; attention_fwd.py:49:51
	v_lshlrev_b64 v[50:51], 1, v[44:45]
	v_add_co_u32 v44, vcc_lo, v64, v46
	s_delay_alu instid0(VALU_DEP_1) | instskip(SKIP_1) | instid1(VALU_DEP_4)
	v_add_co_ci_u32_e64 v45, null, v65, v47, vcc_lo
	v_ashrrev_i32_e32 v93, 31, v92
	v_add_co_u32 v46, vcc_lo, v64, v50
	s_delay_alu instid0(VALU_DEP_1) | instskip(SKIP_3) | instid1(VALU_DEP_1)
	v_add_co_ci_u32_e64 v47, null, v65, v51, vcc_lo
	v_lshlrev_b64 v[50:51], 1, v[52:53]
	.loc	1 49 69                         ; attention_fwd.py:49:69
	v_mul_lo_u32 v52, s65, v85
	.loc	1 49 51                         ; attention_fwd.py:49:51
	v_add_co_u32 v48, vcc_lo, v64, v48
	v_add_co_ci_u32_e64 v49, null, v65, v49, vcc_lo
	s_delay_alu instid0(VALU_DEP_4)
	v_add_co_u32 v50, vcc_lo, v64, v50
	v_ashrrev_i32_e32 v85, 31, v84
	v_ashrrev_i32_e32 v53, 31, v52
	v_add_co_ci_u32_e64 v51, null, v65, v51, vcc_lo
	v_lshlrev_b64 v[92:93], 1, v[92:93]
	v_ashrrev_i32_e32 v104, 31, v103
	s_delay_alu instid0(VALU_DEP_4) | instskip(SKIP_1) | instid1(VALU_DEP_1)
	v_lshlrev_b64 v[58:59], 1, v[52:53]
	v_add_co_u32 v52, vcc_lo, v64, v54
	v_add_co_ci_u32_e64 v53, null, v65, v55, vcc_lo
	.loc	1 49 69                         ; attention_fwd.py:49:69
	v_mul_lo_u32 v136, s65, v167
	s_delay_alu instid0(VALU_DEP_4) | instskip(NEXT) | instid1(VALU_DEP_1)
	.loc	1 49 51                         ; attention_fwd.py:49:51
	v_add_co_u32 v54, vcc_lo, v64, v58
	v_add_co_ci_u32_e64 v55, null, v65, v59, vcc_lo
	v_lshlrev_b64 v[58:59], 1, v[84:85]
	.loc	1 49 69                         ; attention_fwd.py:49:69
	v_mul_lo_u32 v84, s65, v79
	scratch_load_b32 v79, off, off offset:376 ; 4-byte Folded Reload
	.loc	1 49 51                         ; attention_fwd.py:49:51
	v_add_co_u32 v56, vcc_lo, v64, v56
	s_delay_alu instid0(VALU_DEP_1) | instskip(SKIP_4) | instid1(VALU_DEP_3)
	v_add_co_ci_u32_e64 v57, null, v65, v57, vcc_lo
	v_add_co_u32 v58, vcc_lo, v64, v58
	v_ashrrev_i32_e32 v85, 31, v84
	v_add_co_ci_u32_e64 v59, null, v65, v59, vcc_lo
	v_add_co_u32 v81, vcc_lo, v64, v81
	v_lshlrev_b64 v[84:85], 1, v[84:85]
	v_add_co_ci_u32_e64 v82, null, v65, v82, vcc_lo
	v_lshlrev_b64 v[97:98], 1, v[97:98]
	v_ashrrev_i32_e32 v107, 31, v106
	v_lshlrev_b64 v[175:176], 1, v[126:127]
	v_add_co_u32 v84, vcc_lo, v64, v84
	s_delay_alu instid0(VALU_DEP_1)
	v_add_co_ci_u32_e64 v85, null, v65, v85, vcc_lo
	v_ashrrev_i32_e32 v126, 31, v125
	v_lshlrev_b64 v[101:102], 1, v[101:102]
	v_ashrrev_i32_e32 v129, 31, v128
	v_lshlrev_b64 v[103:104], 1, v[103:104]
	v_ashrrev_i32_e32 v132, 31, v131
	.loc	1 49 69                         ; attention_fwd.py:49:69
	v_mul_lo_u32 v171, s65, v162
	.loc	1 49 51                         ; attention_fwd.py:49:51
	v_lshlrev_b64 v[106:107], 1, v[106:107]
	v_ashrrev_i32_e32 v167, 31, v166
	v_lshlrev_b64 v[126:127], 1, v[125:126]
	v_ashrrev_i32_e32 v125, 31, v124
	v_ashrrev_i32_e32 v137, 31, v136
	v_lshlrev_b64 v[128:129], 1, v[128:129]
	v_lshlrev_b64 v[131:132], 1, v[131:132]
	;; [unrolled: 1-line block ×3, first 2 shown]
	v_ashrrev_i32_e32 v166, 31, v165
	v_lshlrev_b64 v[181:182], 1, v[124:125]
	v_ashrrev_i32_e32 v124, 31, v123
	v_lshlrev_b64 v[136:137], 1, v[136:137]
	v_ashrrev_i32_e32 v172, 31, v171
	v_ashrrev_i32_e32 v174, 31, v173
	v_lshlrev_b64 v[165:166], 1, v[165:166]
	v_lshlrev_b64 v[183:184], 1, v[123:124]
	v_ashrrev_i32_e32 v123, 31, v122
	v_lshlrev_b64 v[171:172], 1, v[171:172]
	v_lshlrev_b64 v[173:174], 1, v[173:174]
	.loc	1 48 16 is_stmt 1               ; attention_fwd.py:48:16
	v_div_scale_f32 v110, null, v169, v169, v1
	s_delay_alu instid0(VALU_DEP_4) | instskip(SKIP_3) | instid1(VALU_DEP_1)
	.loc	1 49 51                         ; attention_fwd.py:49:51
	v_lshlrev_b64 v[123:124], 1, v[122:123]
	v_ashrrev_i32_e32 v122, 31, v121
	.loc	1 48 16                         ; attention_fwd.py:48:16
	v_rcp_f32_e32 v99, v86
	.loc	1 49 69                         ; attention_fwd.py:49:69
	s_lshl_b32 s2, s65, 1
	.loc	1 49 51 is_stmt 0               ; attention_fwd.py:49:51
	v_lshlrev_b64 v[185:186], 1, v[121:122]
	v_ashrrev_i32_e32 v121, 31, v120
	s_delay_alu instid0(VALU_DEP_1) | instskip(SKIP_2) | instid1(VALU_DEP_1)
	v_lshlrev_b64 v[189:190], 1, v[120:121]
	v_ashrrev_i32_e32 v120, 31, v119
	.loc	1 48 16 is_stmt 1               ; attention_fwd.py:48:16
	v_rcp_f32_e32 v121, v110
	.loc	1 49 51                         ; attention_fwd.py:49:51
	v_lshlrev_b64 v[119:120], 1, v[119:120]
	.loc	1 49 69 is_stmt 0               ; attention_fwd.py:49:69
	s_waitcnt vmcnt(0)
	v_mul_lo_u32 v90, s65, v79
	.loc	1 49 51                         ; attention_fwd.py:49:51
	v_ashrrev_i32_e32 v79, 31, v78
	s_delay_alu instid0(VALU_DEP_1) | instskip(NEXT) | instid1(VALU_DEP_3)
	v_lshlrev_b64 v[78:79], 1, v[78:79]
	v_ashrrev_i32_e32 v91, 31, v90
	s_delay_alu instid0(VALU_DEP_2) | instskip(NEXT) | instid1(VALU_DEP_2)
	v_add_co_u32 v78, vcc_lo, v64, v78
	v_lshlrev_b64 v[90:91], 1, v[90:91]
	s_delay_alu instid0(VALU_DEP_4) | instskip(NEXT) | instid1(VALU_DEP_2)
	v_add_co_ci_u32_e64 v79, null, v65, v79, vcc_lo
	v_add_co_u32 v90, vcc_lo, v64, v90
	s_delay_alu instid0(VALU_DEP_1) | instskip(SKIP_1) | instid1(VALU_DEP_1)
	v_add_co_ci_u32_e64 v91, null, v65, v91, vcc_lo
	v_add_co_u32 v92, vcc_lo, v64, v92
	v_add_co_ci_u32_e64 v93, null, v65, v93, vcc_lo
	v_add_co_u32 v97, vcc_lo, v64, v97
	s_delay_alu instid0(VALU_DEP_1) | instskip(SKIP_1) | instid1(VALU_DEP_1)
	v_add_co_ci_u32_e64 v98, null, v65, v98, vcc_lo
	v_add_co_u32 v101, vcc_lo, v64, v101
	;; [unrolled: 5-line block ×11, first 2 shown]
	v_add_co_ci_u32_e64 v188, null, v65, v188, vcc_lo
	v_add_co_u32 v193, vcc_lo, v64, v193
	s_delay_alu instid0(VALU_DEP_1) | instskip(SKIP_4) | instid1(VALU_DEP_3)
	v_add_co_ci_u32_e64 v194, null, v65, v194, vcc_lo
	v_add_co_u32 v195, vcc_lo, v64, v115
	v_ashrrev_i32_e32 v115, 31, v114
	v_add_co_ci_u32_e64 v196, null, v65, v116, vcc_lo
	v_add_co_u32 v116, vcc_lo, v64, v117
	v_lshlrev_b64 v[113:114], 1, v[114:115]
	.loc	1 48 16 is_stmt 1               ; attention_fwd.py:48:16
	v_fma_f32 v115, -v86, v99, 1.0
	.loc	1 49 51                         ; attention_fwd.py:49:51
	v_add_co_ci_u32_e64 v117, null, v65, v118, vcc_lo
	.loc	1 48 16                         ; attention_fwd.py:48:16
	v_fma_f32 v118, -v110, v121, 1.0
	v_div_scale_f32 v124, vcc_lo, v0, v169, v0
	s_delay_alu instid0(VALU_DEP_4) | instskip(SKIP_1) | instid1(VALU_DEP_4)
	v_fmac_f32_e32 v99, v115, v99
	.loc	1 49 51                         ; attention_fwd.py:49:51
	v_add_co_u32 v197, s1, v64, v113
	.loc	1 48 16                         ; attention_fwd.py:48:16
	v_fmac_f32_e32 v121, v118, v121
	v_div_scale_f32 v118, s0, v1, v169, v1
	s_delay_alu instid0(VALU_DEP_4) | instskip(SKIP_1) | instid1(VALU_DEP_3)
	v_mul_f32_e32 v127, v124, v99
	.loc	1 49 51                         ; attention_fwd.py:49:51
	v_add_co_ci_u32_e64 v198, null, v65, v114, s1
	.loc	1 48 16                         ; attention_fwd.py:48:16
	v_mul_f32_e32 v134, v118, v121
	.loc	1 49 69                         ; attention_fwd.py:49:69
	v_subrev_nc_u32_e32 v114, s2, v112
	s_delay_alu instid0(VALU_DEP_4) | instskip(SKIP_3) | instid1(VALU_DEP_4)
	.loc	1 48 16                         ; attention_fwd.py:48:16
	v_fma_f32 v138, -v86, v127, v124
	.loc	1 49 51                         ; attention_fwd.py:49:51
	v_ashrrev_i32_e32 v113, 31, v112
	v_add_co_u32 v191, s1, v64, v191
	.loc	1 48 16                         ; attention_fwd.py:48:16
	v_fma_f32 v162, -v110, v134, v118
	v_fmac_f32_e32 v127, v138, v99
	.loc	1 49 69                         ; attention_fwd.py:49:69
	v_subrev_nc_u32_e32 v199, s2, v114
	.loc	1 49 51 is_stmt 0               ; attention_fwd.py:49:51
	v_ashrrev_i32_e32 v115, 31, v114
	v_lshlrev_b64 v[112:113], 1, v[112:113]
	.loc	1 48 16 is_stmt 1               ; attention_fwd.py:48:16
	v_fmac_f32_e32 v134, v162, v121
	v_fma_f32 v86, -v86, v127, v124
	.loc	1 49 69                         ; attention_fwd.py:49:69
	v_subrev_nc_u32_e32 v201, s2, v199
	.loc	1 49 51 is_stmt 0               ; attention_fwd.py:49:51
	v_ashrrev_i32_e32 v200, 31, v199
	v_lshlrev_b64 v[114:115], 1, v[114:115]
	.loc	1 48 16 is_stmt 1               ; attention_fwd.py:48:16
	v_fma_f32 v110, -v110, v134, v118
	v_div_fmas_f32 v86, v86, v99, v127
	s_mov_b32 vcc_lo, s0
	.loc	1 49 51                         ; attention_fwd.py:49:51
	v_ashrrev_i32_e32 v202, 31, v201
	v_lshlrev_b64 v[199:200], 1, v[199:200]
	.loc	1 48 16                         ; attention_fwd.py:48:16
	v_div_fmas_f32 v99, v110, v121, v134
	v_div_fixup_f32 v86, v86, v169, v0
	.loc	1 49 51                         ; attention_fwd.py:49:51
	v_add_co_u32 v114, vcc_lo, v64, v114
	s_delay_alu instid0(VALU_DEP_1) | instskip(NEXT) | instid1(VALU_DEP_4)
	v_add_co_ci_u32_e64 v115, null, v65, v115, vcc_lo
	.loc	1 48 16                         ; attention_fwd.py:48:16
	v_div_fixup_f32 v99, v99, v169, v1
	.loc	1 49 51                         ; attention_fwd.py:49:51
	v_lshlrev_b64 v[0:1], 1, v[201:202]
	v_lshlrev_b64 v[201:202], 1, v[203:204]
	v_add_co_u32 v199, vcc_lo, v64, v199
	s_delay_alu instid0(VALU_DEP_1) | instskip(NEXT) | instid1(VALU_DEP_4)
	v_add_co_ci_u32_e64 v200, null, v65, v200, vcc_lo
	v_add_co_u32 v0, vcc_lo, v64, v0
	s_delay_alu instid0(VALU_DEP_1)
	v_add_co_ci_u32_e64 v1, null, v65, v1, vcc_lo
	v_add_co_u32 v201, vcc_lo, v64, v201
	.loc	1 50 30                         ; attention_fwd.py:50:30
	v_cvt_f16_f32_e32 v86, v86
	.loc	1 49 51                         ; attention_fwd.py:49:51
	v_add_co_ci_u32_e64 v202, null, v65, v202, vcc_lo
	.loc	1 50 30                         ; attention_fwd.py:50:30
	v_cvt_f16_f32_e32 v99, v99
	.loc	1 49 51                         ; attention_fwd.py:49:51
	v_add_co_u32 v64, vcc_lo, v64, v112
	v_add_co_ci_u32_e64 v192, null, v65, v192, s1
	v_add_co_ci_u32_e64 v65, null, v65, v113, vcc_lo
	.loc	1 50 23                         ; attention_fwd.py:50:23
	s_clause 0x1f
	global_store_b16 v[201:202], v86, off
	global_store_b16 v[0:1], v99, off
	;; [unrolled: 1-line block ×32, first 2 shown]
	s_clause 0x1f
	global_store_b16 v[78:79], v135, off
	global_store_b16 v[84:85], v133, off
	;; [unrolled: 1-line block ×32, first 2 shown]
	.loc	1 50 4 is_stmt 0                ; attention_fwd.py:50:4
	s_nop 0
	s_sendmsg sendmsg(MSG_DEALLOC_VGPRS)
	s_endpgm
.Ltmp134:
	.section	.rodata,"a",@progbits
	.p2align	6, 0x0
	.amdhsa_kernel attention_fwd_kernel
		.amdhsa_group_segment_fixed_size 0
		.amdhsa_private_segment_fixed_size 388
		.amdhsa_kernarg_size 88
		.amdhsa_user_sgpr_count 15
		.amdhsa_user_sgpr_dispatch_ptr 0
		.amdhsa_user_sgpr_queue_ptr 0
		.amdhsa_user_sgpr_kernarg_segment_ptr 1
		.amdhsa_user_sgpr_dispatch_id 0
		.amdhsa_user_sgpr_private_segment_size 0
		.amdhsa_wavefront_size32 1
		.amdhsa_uses_dynamic_stack 0
		.amdhsa_enable_private_segment 1
		.amdhsa_system_sgpr_workgroup_id_x 1
		.amdhsa_system_sgpr_workgroup_id_y 0
		.amdhsa_system_sgpr_workgroup_id_z 0
		.amdhsa_system_sgpr_workgroup_info 0
		.amdhsa_system_vgpr_workitem_id 0
		.amdhsa_next_free_vgpr 256
		.amdhsa_next_free_sgpr 105
		.amdhsa_reserve_vcc 1
		.amdhsa_float_round_mode_32 0
		.amdhsa_float_round_mode_16_64 0
		.amdhsa_float_denorm_mode_32 3
		.amdhsa_float_denorm_mode_16_64 3
		.amdhsa_dx10_clamp 1
		.amdhsa_ieee_mode 1
		.amdhsa_fp16_overflow 0
		.amdhsa_workgroup_processor_mode 1
		.amdhsa_memory_ordered 1
		.amdhsa_forward_progress 1
		.amdhsa_shared_vgpr_count 0
		.amdhsa_inst_pref_size 63
		.amdhsa_exception_fp_ieee_invalid_op 0
		.amdhsa_exception_fp_denorm_src 0
		.amdhsa_exception_fp_ieee_div_zero 0
		.amdhsa_exception_fp_ieee_overflow 0
		.amdhsa_exception_fp_ieee_underflow 0
		.amdhsa_exception_fp_ieee_inexact 0
		.amdhsa_exception_int_div_zero 0
	.end_amdhsa_kernel
	.text
.Lfunc_end0:
	.size	attention_fwd_kernel, .Lfunc_end0-attention_fwd_kernel
	.cfi_endproc
                                        ; -- End function
	.set attention_fwd_kernel.num_vgpr, 256
	.set attention_fwd_kernel.num_agpr, 0
	.set attention_fwd_kernel.numbered_sgpr, 105
	.set attention_fwd_kernel.num_named_barrier, 0
	.set attention_fwd_kernel.private_seg_size, 388
	.set attention_fwd_kernel.uses_vcc, 1
	.set attention_fwd_kernel.uses_flat_scratch, 1
	.set attention_fwd_kernel.has_dyn_sized_stack, 0
	.set attention_fwd_kernel.has_recursion, 0
	.set attention_fwd_kernel.has_indirect_call, 0
	.section	.AMDGPU.csdata,"",@progbits
; Kernel info:
; codeLenInByte = 57368
; TotalNumSgprs: 107
; NumVgprs: 256
; ScratchSize: 388
; MemoryBound: 0
; FloatMode: 240
; IeeeMode: 1
; LDSByteSize: 0 bytes/workgroup (compile time only)
; SGPRBlocks: 0
; VGPRBlocks: 31
; NumSGPRsForWavesPerEU: 107
; NumVGPRsForWavesPerEU: 256
; Occupancy: 5
; WaveLimiterHint : 0
; COMPUTE_PGM_RSRC2:SCRATCH_EN: 1
; COMPUTE_PGM_RSRC2:USER_SGPR: 15
; COMPUTE_PGM_RSRC2:TRAP_HANDLER: 0
; COMPUTE_PGM_RSRC2:TGID_X_EN: 1
; COMPUTE_PGM_RSRC2:TGID_Y_EN: 0
; COMPUTE_PGM_RSRC2:TGID_Z_EN: 0
; COMPUTE_PGM_RSRC2:TIDIG_COMP_CNT: 0
	.text
	.p2alignl 7, 3214868480
	.fill 96, 4, 3214868480
	.section	.AMDGPU.gpr_maximums,"",@progbits
	.set amdgpu.max_num_vgpr, 0
	.set amdgpu.max_num_agpr, 0
	.set amdgpu.max_num_sgpr, 0
	.set amdgpu.max_num_named_barrier, 0
	.text
	.section	.debug_abbrev,"",@progbits
	.byte	1                               ; Abbreviation Code
	.byte	17                              ; DW_TAG_compile_unit
	.byte	1                               ; DW_CHILDREN_yes
	.byte	37                              ; DW_AT_producer
	.byte	14                              ; DW_FORM_strp
	.byte	19                              ; DW_AT_language
	.byte	5                               ; DW_FORM_data2
	.byte	3                               ; DW_AT_name
	.byte	14                              ; DW_FORM_strp
	.byte	16                              ; DW_AT_stmt_list
	.byte	23                              ; DW_FORM_sec_offset
	.byte	27                              ; DW_AT_comp_dir
	.byte	14                              ; DW_FORM_strp
	.byte	17                              ; DW_AT_low_pc
	.byte	1                               ; DW_FORM_addr
	.byte	18                              ; DW_AT_high_pc
	.byte	6                               ; DW_FORM_data4
	.byte	0                               ; EOM(1)
	.byte	0                               ; EOM(2)
	.byte	2                               ; Abbreviation Code
	.byte	46                              ; DW_TAG_subprogram
	.byte	0                               ; DW_CHILDREN_no
	.byte	3                               ; DW_AT_name
	.byte	14                              ; DW_FORM_strp
	.byte	32                              ; DW_AT_inline
	.byte	11                              ; DW_FORM_data1
	.byte	0                               ; EOM(1)
	.byte	0                               ; EOM(2)
	.byte	3                               ; Abbreviation Code
	.byte	46                              ; DW_TAG_subprogram
	.byte	1                               ; DW_CHILDREN_yes
	.byte	17                              ; DW_AT_low_pc
	.byte	1                               ; DW_FORM_addr
	.byte	18                              ; DW_AT_high_pc
	.byte	6                               ; DW_FORM_data4
	.byte	49                              ; DW_AT_abstract_origin
	.byte	19                              ; DW_FORM_ref4
	.byte	0                               ; EOM(1)
	.byte	0                               ; EOM(2)
	.byte	4                               ; Abbreviation Code
	.byte	29                              ; DW_TAG_inlined_subroutine
	.byte	1                               ; DW_CHILDREN_yes
	.byte	49                              ; DW_AT_abstract_origin
	.byte	19                              ; DW_FORM_ref4
	.byte	85                              ; DW_AT_ranges
	.byte	23                              ; DW_FORM_sec_offset
	.byte	88                              ; DW_AT_call_file
	.byte	11                              ; DW_FORM_data1
	.byte	89                              ; DW_AT_call_line
	.byte	11                              ; DW_FORM_data1
	.byte	87                              ; DW_AT_call_column
	.byte	11                              ; DW_FORM_data1
	.byte	0                               ; EOM(1)
	.byte	0                               ; EOM(2)
	.byte	5                               ; Abbreviation Code
	.byte	29                              ; DW_TAG_inlined_subroutine
	.byte	0                               ; DW_CHILDREN_no
	.byte	49                              ; DW_AT_abstract_origin
	.byte	19                              ; DW_FORM_ref4
	.byte	85                              ; DW_AT_ranges
	.byte	23                              ; DW_FORM_sec_offset
	.byte	88                              ; DW_AT_call_file
	.byte	11                              ; DW_FORM_data1
	.byte	89                              ; DW_AT_call_line
	.byte	5                               ; DW_FORM_data2
	.byte	87                              ; DW_AT_call_column
	.byte	11                              ; DW_FORM_data1
	.byte	0                               ; EOM(1)
	.byte	0                               ; EOM(2)
	.byte	6                               ; Abbreviation Code
	.byte	29                              ; DW_TAG_inlined_subroutine
	.byte	0                               ; DW_CHILDREN_no
	.byte	49                              ; DW_AT_abstract_origin
	.byte	19                              ; DW_FORM_ref4
	.byte	85                              ; DW_AT_ranges
	.byte	23                              ; DW_FORM_sec_offset
	.byte	88                              ; DW_AT_call_file
	.byte	11                              ; DW_FORM_data1
	.byte	89                              ; DW_AT_call_line
	.byte	11                              ; DW_FORM_data1
	.byte	87                              ; DW_AT_call_column
	.byte	11                              ; DW_FORM_data1
	.byte	0                               ; EOM(1)
	.byte	0                               ; EOM(2)
	.byte	0                               ; EOM(3)
	.section	.debug_info,"",@progbits
.Lcu_begin0:
	.long	.Ldebug_info_end0-.Ldebug_info_start0 ; Length of Unit
.Ldebug_info_start0:
	.short	4                               ; DWARF version number
	.long	.debug_abbrev                   ; Offset Into Abbrev. Section
	.byte	8                               ; Address Size (in bytes)
	.byte	1                               ; Abbrev [1] 0xb:0x6b DW_TAG_compile_unit
	.long	.Linfo_string0                  ; DW_AT_producer
	.short	2                               ; DW_AT_language
	.long	.Linfo_string1                  ; DW_AT_name
	.long	.Lline_table_start0             ; DW_AT_stmt_list
	.long	.Linfo_string2                  ; DW_AT_comp_dir
	.quad	.Lfunc_begin0                   ; DW_AT_low_pc
	.long	.Lfunc_end0-.Lfunc_begin0       ; DW_AT_high_pc
	.byte	2                               ; Abbrev [2] 0x2a:0x6 DW_TAG_subprogram
	.long	.Linfo_string3                  ; DW_AT_name
	.byte	1                               ; DW_AT_inline
	.byte	3                               ; Abbrev [3] 0x30:0x45 DW_TAG_subprogram
	.quad	.Lfunc_begin0                   ; DW_AT_low_pc
	.long	.Lfunc_end0-.Lfunc_begin0       ; DW_AT_high_pc
	.long	42                              ; DW_AT_abstract_origin
	.byte	4                               ; Abbrev [4] 0x41:0x1a DW_TAG_inlined_subroutine
	.long	42                              ; DW_AT_abstract_origin
	.long	.Ldebug_ranges0                 ; DW_AT_ranges
	.byte	1                               ; DW_AT_call_file
	.byte	42                              ; DW_AT_call_line
	.byte	38                              ; DW_AT_call_column
	.byte	5                               ; Abbrev [5] 0x4d:0xd DW_TAG_inlined_subroutine
	.long	42                              ; DW_AT_abstract_origin
	.long	.Ldebug_ranges1                 ; DW_AT_ranges
	.byte	2                               ; DW_AT_call_file
	.short	293                             ; DW_AT_call_line
	.byte	36                              ; DW_AT_call_column
	.byte	0                               ; End Of Children Mark
	.byte	4                               ; Abbrev [4] 0x5b:0x19 DW_TAG_inlined_subroutine
	.long	42                              ; DW_AT_abstract_origin
	.long	.Ldebug_ranges2                 ; DW_AT_ranges
	.byte	1                               ; DW_AT_call_file
	.byte	39                              ; DW_AT_call_line
	.byte	42                              ; DW_AT_call_column
	.byte	6                               ; Abbrev [6] 0x67:0xc DW_TAG_inlined_subroutine
	.long	42                              ; DW_AT_abstract_origin
	.long	.Ldebug_ranges3                 ; DW_AT_ranges
	.byte	2                               ; DW_AT_call_file
	.byte	191                             ; DW_AT_call_line
	.byte	40                              ; DW_AT_call_column
	.byte	0                               ; End Of Children Mark
	.byte	0                               ; End Of Children Mark
	;; [unrolled: 1-line block ×3, first 2 shown]
.Ldebug_info_end0:
	.section	.debug_ranges,"",@progbits
.Ldebug_ranges0:
	.quad	.Ltmp1-.Lfunc_begin0
	.quad	.Ltmp2-.Lfunc_begin0
	.quad	.Ltmp36-.Lfunc_begin0
	.quad	.Ltmp38-.Lfunc_begin0
	.quad	.Ltmp72-.Lfunc_begin0
	.quad	.Ltmp73-.Lfunc_begin0
	.quad	.Ltmp74-.Lfunc_begin0
	.quad	.Ltmp75-.Lfunc_begin0
	.quad	.Ltmp76-.Lfunc_begin0
	.quad	.Ltmp77-.Lfunc_begin0
	.quad	.Ltmp78-.Lfunc_begin0
	.quad	.Ltmp79-.Lfunc_begin0
	.quad	.Ltmp80-.Lfunc_begin0
	.quad	.Ltmp81-.Lfunc_begin0
	.quad	.Ltmp82-.Lfunc_begin0
	.quad	.Ltmp83-.Lfunc_begin0
	.quad	.Ltmp84-.Lfunc_begin0
	.quad	.Ltmp85-.Lfunc_begin0
	.quad	.Ltmp86-.Lfunc_begin0
	.quad	.Ltmp87-.Lfunc_begin0
	.quad	.Ltmp88-.Lfunc_begin0
	.quad	.Ltmp89-.Lfunc_begin0
	.quad	.Ltmp90-.Lfunc_begin0
	.quad	.Ltmp91-.Lfunc_begin0
	.quad	.Ltmp92-.Lfunc_begin0
	.quad	.Ltmp93-.Lfunc_begin0
	.quad	.Ltmp94-.Lfunc_begin0
	.quad	.Ltmp95-.Lfunc_begin0
	.quad	.Ltmp96-.Lfunc_begin0
	.quad	.Ltmp97-.Lfunc_begin0
	.quad	.Ltmp98-.Lfunc_begin0
	.quad	.Ltmp99-.Lfunc_begin0
	.quad	.Ltmp100-.Lfunc_begin0
	.quad	.Ltmp101-.Lfunc_begin0
	.quad	.Ltmp102-.Lfunc_begin0
	.quad	.Ltmp103-.Lfunc_begin0
	.quad	.Ltmp104-.Lfunc_begin0
	.quad	.Ltmp105-.Lfunc_begin0
	.quad	.Ltmp106-.Lfunc_begin0
	.quad	.Ltmp107-.Lfunc_begin0
	.quad	.Ltmp108-.Lfunc_begin0
	.quad	.Ltmp109-.Lfunc_begin0
	.quad	.Ltmp110-.Lfunc_begin0
	.quad	.Ltmp111-.Lfunc_begin0
	.quad	.Ltmp112-.Lfunc_begin0
	.quad	.Ltmp113-.Lfunc_begin0
	.quad	.Ltmp114-.Lfunc_begin0
	.quad	.Ltmp115-.Lfunc_begin0
	.quad	.Ltmp116-.Lfunc_begin0
	.quad	.Ltmp117-.Lfunc_begin0
	.quad	.Ltmp118-.Lfunc_begin0
	.quad	.Ltmp119-.Lfunc_begin0
	.quad	.Ltmp120-.Lfunc_begin0
	.quad	.Ltmp121-.Lfunc_begin0
	.quad	.Ltmp122-.Lfunc_begin0
	.quad	.Ltmp123-.Lfunc_begin0
	.quad	.Ltmp124-.Lfunc_begin0
	.quad	.Ltmp125-.Lfunc_begin0
	.quad	.Ltmp126-.Lfunc_begin0
	.quad	.Ltmp127-.Lfunc_begin0
	.quad	.Ltmp128-.Lfunc_begin0
	.quad	.Ltmp129-.Lfunc_begin0
	.quad	.Ltmp130-.Lfunc_begin0
	.quad	.Ltmp131-.Lfunc_begin0
	.quad	.Ltmp132-.Lfunc_begin0
	.quad	.Ltmp133-.Lfunc_begin0
	.quad	0
	.quad	0
.Ldebug_ranges1:
	.quad	.Ltmp1-.Lfunc_begin0
	.quad	.Ltmp2-.Lfunc_begin0
	;; [unrolled: 1-line block ×64, first 2 shown]
	.quad	0
	.quad	0
.Ldebug_ranges2:
	.quad	.Ltmp3-.Lfunc_begin0
	.quad	.Ltmp4-.Lfunc_begin0
	;; [unrolled: 1-line block ×64, first 2 shown]
	.quad	0
	.quad	0
.Ldebug_ranges3:
	.quad	.Ltmp3-.Lfunc_begin0
	.quad	.Ltmp4-.Lfunc_begin0
	;; [unrolled: 1-line block ×64, first 2 shown]
	.quad	0
	.quad	0
	.section	.debug_str,"MS",@progbits,1
.Linfo_string0:
	.asciz	"triton"                        ; string offset=0
.Linfo_string1:
	.asciz	"attention_fwd.py"              ; string offset=7
.Linfo_string2:
	.asciz	"/root/src/amdgpu-assembly/repos/triton-lang__triton-aot" ; string offset=24
.Linfo_string3:
	.asciz	"attention_fwd_kernel"          ; string offset=80
	.section	".note.GNU-stack","",@progbits
	.amdgpu_metadata
---
amdhsa.kernels:
  - .args:
      - .address_space:  global
        .offset:         0
        .size:           8
        .value_kind:     global_buffer
      - .address_space:  global
        .offset:         8
        .size:           8
        .value_kind:     global_buffer
      - .address_space:  global
        .offset:         16
        .size:           8
        .value_kind:     global_buffer
      - .address_space:  global
        .offset:         24
        .size:           8
        .value_kind:     global_buffer
      - .offset:         32
        .size:           4
        .value_kind:     by_value
      - .offset:         36
        .size:           4
        .value_kind:     by_value
      - .offset:         40
        .size:           4
        .value_kind:     by_value
      - .offset:         44
        .size:           4
        .value_kind:     by_value
      - .offset:         48
        .size:           4
        .value_kind:     by_value
      - .offset:         52
        .size:           4
        .value_kind:     by_value
      - .offset:         56
        .size:           4
        .value_kind:     by_value
      - .offset:         60
        .size:           4
        .value_kind:     by_value
      - .offset:         64
        .size:           4
        .value_kind:     by_value
      - .offset:         68
        .size:           4
        .value_kind:     by_value
      - .address_space:  global
        .offset:         72
        .size:           8
        .value_kind:     global_buffer
      - .address_space:  global
        .offset:         80
        .size:           8
        .value_kind:     global_buffer
    .group_segment_fixed_size: 0
    .kernarg_segment_align: 8
    .kernarg_segment_size: 88
    .max_flat_workgroup_size: 256
    .name:           attention_fwd_kernel
    .private_segment_fixed_size: 388
    .sgpr_count:     107
    .sgpr_spill_count: 10
    .symbol:         attention_fwd_kernel.kd
    .uniform_work_group_size: 1
    .uses_dynamic_stack: false
    .vgpr_count:     256
    .vgpr_spill_count: 115
    .wavefront_size: 32
    .workgroup_processor_mode: 1
amdhsa.target:   amdgcn-amd-amdhsa--gfx1100
amdhsa.version:
  - 1
  - 2
...

	.end_amdgpu_metadata
	.section	.debug_line,"",@progbits
.Lline_table_start0:
